;; amdgpu-corpus repo=ROCm/rocFFT kind=compiled arch=gfx950 opt=O3
	.text
	.amdgcn_target "amdgcn-amd-amdhsa--gfx950"
	.amdhsa_code_object_version 6
	.protected	bluestein_single_fwd_len1215_dim1_half_op_CI_CI ; -- Begin function bluestein_single_fwd_len1215_dim1_half_op_CI_CI
	.globl	bluestein_single_fwd_len1215_dim1_half_op_CI_CI
	.p2align	8
	.type	bluestein_single_fwd_len1215_dim1_half_op_CI_CI,@function
bluestein_single_fwd_len1215_dim1_half_op_CI_CI: ; @bluestein_single_fwd_len1215_dim1_half_op_CI_CI
; %bb.0:
	s_load_dwordx4 s[12:15], s[0:1], 0x28
	v_mul_u32_u24_e32 v4, 0x10e, v0
	v_mov_b32_e32 v1, 0
	v_add_u32_sdwa v2, s2, v4 dst_sel:DWORD dst_unused:UNUSED_PAD src0_sel:DWORD src1_sel:WORD_1
	v_mov_b32_e32 v3, v1
	s_waitcnt lgkmcnt(0)
	v_cmp_gt_u64_e32 vcc, s[12:13], v[2:3]
	s_and_saveexec_b64 s[2:3], vcc
	s_cbranch_execz .LBB0_42
; %bb.1:
	s_load_dwordx4 s[4:7], s[0:1], 0x18
	s_load_dwordx4 s[8:11], s[0:1], 0x0
	v_mov_b32_e32 v6, s14
	v_mov_b32_e32 v7, s15
	s_movk_i32 s2, 0xf3
	s_waitcnt lgkmcnt(0)
	s_load_dwordx4 s[12:15], s[4:5], 0x0
	v_mul_lo_u16_sdwa v3, v4, s2 dst_sel:DWORD dst_unused:UNUSED_PAD src0_sel:WORD_1 src1_sel:DWORD
	v_sub_u16_e32 v0, v0, v3
	v_lshlrev_b32_e32 v3, 2, v0
	global_load_dword v28, v3, s[8:9]
	s_waitcnt lgkmcnt(0)
	v_mad_u64_u32 v[4:5], s[2:3], s14, v2, 0
	v_mov_b32_e32 v8, v5
	v_mad_u64_u32 v[8:9], s[2:3], s15, v2, v[8:9]
	v_mov_b32_e32 v5, v8
	v_mad_u64_u32 v[8:9], s[2:3], s12, v0, 0
	v_mov_b32_e32 v10, v9
	v_mad_u64_u32 v[10:11], s[2:3], s13, v0, v[10:11]
	v_mov_b32_e32 v9, v10
	v_lshl_add_u64 v[4:5], v[4:5], 2, v[6:7]
	v_lshl_add_u64 v[4:5], v[8:9], 2, v[4:5]
	global_load_dword v6, v[4:5], off
	v_mov_b32_e32 v7, 0x3cc
	v_mad_u64_u32 v[4:5], s[2:3], s12, v7, v[4:5]
	s_mul_i32 s4, s13, 0x3cc
	v_add_u32_e32 v5, s4, v5
	global_load_dword v8, v[4:5], off
	global_load_dword v27, v3, s[8:9] offset:972
	v_mad_u64_u32 v[4:5], s[2:3], s12, v7, v[4:5]
	v_add_u32_e32 v5, s4, v5
	global_load_dword v9, v[4:5], off
	global_load_dword v26, v3, s[8:9] offset:1944
	v_mad_u64_u32 v[4:5], s[2:3], s12, v7, v[4:5]
	;; [unrolled: 4-line block ×3, first 2 shown]
	v_add_u32_e32 v5, s4, v5
	global_load_dword v7, v[4:5], off
	global_load_dword v24, v3, s[8:9] offset:3888
	v_mul_lo_u16_e32 v4, 5, v0
	v_lshlrev_b32_e32 v29, 2, v4
	v_add_u32_e32 v11, 0x780, v3
	s_load_dwordx4 s[4:7], s[6:7], 0x0
	s_mov_b32 s12, 0xffff
	s_load_dwordx2 s[2:3], s[0:1], 0x38
	s_movk_i32 s0, 0x3b9c
	s_movk_i32 s1, 0x38b4
	;; [unrolled: 1-line block ×3, first 2 shown]
	s_waitcnt vmcnt(8)
	v_lshrrev_b32_e32 v4, 16, v6
	v_mul_f16_sdwa v5, v28, v6 dst_sel:DWORD dst_unused:UNUSED_PAD src0_sel:WORD_1 src1_sel:DWORD
	v_mul_f16_sdwa v12, v28, v4 dst_sel:DWORD dst_unused:UNUSED_PAD src0_sel:WORD_1 src1_sel:DWORD
	v_fma_f16 v4, v28, v4, -v5
	v_fma_f16 v5, v28, v6, v12
	s_waitcnt vmcnt(7)
	v_lshrrev_b32_e32 v6, 16, v8
	s_waitcnt vmcnt(6)
	v_mul_f16_sdwa v12, v27, v8 dst_sel:DWORD dst_unused:UNUSED_PAD src0_sel:WORD_1 src1_sel:DWORD
	v_pack_b32_f16 v4, v5, v4
	v_mul_f16_sdwa v5, v27, v6 dst_sel:DWORD dst_unused:UNUSED_PAD src0_sel:WORD_1 src1_sel:DWORD
	v_fma_f16 v6, v27, v6, -v12
	v_fma_f16 v5, v27, v8, v5
	s_waitcnt vmcnt(5)
	v_lshrrev_b32_e32 v8, 16, v9
	s_waitcnt vmcnt(4)
	v_mul_f16_sdwa v12, v26, v9 dst_sel:DWORD dst_unused:UNUSED_PAD src0_sel:WORD_1 src1_sel:DWORD
	v_pack_b32_f16 v5, v5, v6
	v_mul_f16_sdwa v6, v26, v8 dst_sel:DWORD dst_unused:UNUSED_PAD src0_sel:WORD_1 src1_sel:DWORD
	v_fma_f16 v8, v26, v8, -v12
	ds_write2_b32 v3, v4, v5 offset1:243
	v_fma_f16 v4, v26, v9, v6
	s_waitcnt vmcnt(3)
	v_lshrrev_b32_e32 v5, 16, v10
	s_waitcnt vmcnt(2)
	v_mul_f16_sdwa v6, v25, v10 dst_sel:DWORD dst_unused:UNUSED_PAD src0_sel:WORD_1 src1_sel:DWORD
	v_pack_b32_f16 v4, v4, v8
	v_mul_f16_sdwa v8, v25, v5 dst_sel:DWORD dst_unused:UNUSED_PAD src0_sel:WORD_1 src1_sel:DWORD
	v_fma_f16 v5, v25, v5, -v6
	v_fma_f16 v6, v25, v10, v8
	s_waitcnt vmcnt(1)
	v_lshrrev_b32_e32 v8, 16, v7
	s_waitcnt vmcnt(0)
	v_mul_f16_sdwa v9, v24, v7 dst_sel:DWORD dst_unused:UNUSED_PAD src0_sel:WORD_1 src1_sel:DWORD
	v_pack_b32_f16 v5, v6, v5
	v_mul_f16_sdwa v6, v24, v8 dst_sel:DWORD dst_unused:UNUSED_PAD src0_sel:WORD_1 src1_sel:DWORD
	v_fma_f16 v8, v24, v8, -v9
	ds_write2_b32 v11, v4, v5 offset0:6 offset1:249
	v_fma_f16 v4, v24, v7, v6
	v_pack_b32_f16 v4, v4, v8
	ds_write_b32 v3, v4 offset:3888
	s_waitcnt lgkmcnt(0)
	s_barrier
	ds_read2_b32 v[4:5], v3 offset1:243
	ds_read2_b32 v[6:7], v11 offset0:6 offset1:249
	ds_read_b32 v8, v3 offset:3888
	s_waitcnt lgkmcnt(0)
	s_barrier
	v_pk_add_f16 v9, v4, v5
	v_pk_add_f16 v10, v6, v7
	v_pk_add_f16 v11, v5, v8 neg_lo:[0,1] neg_hi:[0,1]
	v_pk_add_f16 v12, v6, v7 neg_lo:[0,1] neg_hi:[0,1]
	v_pk_add_f16 v13, v5, v6 neg_lo:[0,1] neg_hi:[0,1]
	v_pk_add_f16 v15, v5, v8
	v_pk_add_f16 v9, v9, v6
	v_pk_add_f16 v5, v6, v5 neg_lo:[0,1] neg_hi:[0,1]
	v_pk_add_f16 v6, v7, v8 neg_lo:[0,1] neg_hi:[0,1]
	v_pk_fma_f16 v10, v10, 0.5, v4 op_sel_hi:[1,0,1] neg_lo:[1,0,0] neg_hi:[1,0,0]
	v_pk_fma_f16 v4, v15, 0.5, v4 op_sel_hi:[1,0,1] neg_lo:[1,0,0] neg_hi:[1,0,0]
	v_pk_add_f16 v9, v9, v7
	v_pk_add_f16 v5, v5, v6
	v_pk_mul_f16 v6, v12, s0 op_sel_hi:[1,0]
	v_pk_add_f16 v14, v8, v7 neg_lo:[0,1] neg_hi:[0,1]
	v_pk_mul_f16 v16, v11, s0 op_sel_hi:[1,0]
	v_pk_add_f16 v9, v9, v8
	v_pk_mul_f16 v7, v11, s1 op_sel_hi:[1,0]
	v_pk_add_f16 v8, v4, v6 op_sel:[0,1] op_sel_hi:[1,0] neg_lo:[0,1] neg_hi:[0,1]
	v_pk_add_f16 v4, v4, v6 op_sel:[0,1] op_sel_hi:[1,0]
	v_pk_mul_f16 v17, v12, s1 op_sel_hi:[1,0]
	v_pk_add_f16 v13, v13, v14
	v_pk_add_f16 v14, v10, v16 op_sel:[0,1] op_sel_hi:[1,0]
	v_pk_add_f16 v10, v10, v16 op_sel:[0,1] op_sel_hi:[1,0] neg_lo:[0,1] neg_hi:[0,1]
	v_pk_add_f16 v6, v8, v7 op_sel:[0,1] op_sel_hi:[1,0]
	v_pk_add_f16 v4, v4, v7 op_sel:[0,1] op_sel_hi:[1,0] neg_lo:[0,1] neg_hi:[0,1]
	;; [unrolled: 2-line block ×3, first 2 shown]
	v_bfi_b32 v7, s12, v6, v4
	v_bfi_b32 v4, s12, v4, v6
	;; [unrolled: 1-line block ×3, first 2 shown]
	v_pk_fma_f16 v8, v5, s13, v4 op_sel_hi:[1,0,1]
	v_bfi_b32 v4, s12, v10, v14
	v_pk_fma_f16 v15, v13, s13, v15 op_sel_hi:[1,0,1]
	v_pk_fma_f16 v7, v5, s13, v7 op_sel_hi:[1,0,1]
	;; [unrolled: 1-line block ×3, first 2 shown]
	ds_write2_b32 v29, v9, v15 offset1:1
	ds_write2_b32 v29, v7, v8 offset0:2 offset1:3
	ds_write_b32 v29, v11 offset:16
	s_waitcnt lgkmcnt(0)
	s_barrier
	ds_read_b32 v10, v3
	ds_read_b32 v13, v3 offset:1620
	ds_read_b32 v12, v3 offset:3240
	s_movk_i32 s0, 0xa2
	v_lshrrev_b32_e32 v9, 16, v8
	v_cmp_gt_u16_e64 s[0:1], s0, v0
	v_lshrrev_b32_e32 v14, 16, v11
                                        ; implicit-def: $vgpr15
                                        ; implicit-def: $vgpr16
	s_and_saveexec_b64 s[12:13], s[0:1]
	s_cbranch_execz .LBB0_3
; %bb.2:
	ds_read_b32 v8, v3 offset:972
	ds_read_b32 v11, v3 offset:2592
	;; [unrolled: 1-line block ×3, first 2 shown]
	s_waitcnt lgkmcnt(2)
	v_lshrrev_b32_e32 v9, 16, v8
	s_waitcnt lgkmcnt(1)
	v_lshrrev_b32_e32 v14, 16, v11
	;; [unrolled: 2-line block ×3, first 2 shown]
.LBB0_3:
	s_or_b64 exec, exec, s[12:13]
	s_mov_b64 s[12:13], 0xf3
	v_lshl_add_u64 v[20:21], v[0:1], 0, s[12:13]
	s_movk_i32 s12, 0xcd
	v_mul_lo_u16_sdwa v4, v0, s12 dst_sel:DWORD dst_unused:UNUSED_PAD src0_sel:BYTE_0 src1_sel:DWORD
	s_mov_b32 s12, 0xcccd
	v_lshrrev_b16_e32 v17, 10, v4
	v_mul_u32_u24_sdwa v6, v20, s12 dst_sel:DWORD dst_unused:UNUSED_PAD src0_sel:WORD_0 src1_sel:DWORD
	v_mul_lo_u16_e32 v4, 5, v17
	v_lshrrev_b32_e32 v30, 18, v6
	v_sub_u16_e32 v4, v0, v4
	v_mul_lo_u16_e32 v6, 5, v30
	v_and_b32_e32 v18, 0xff, v4
	v_sub_u16_e32 v31, v20, v6
	v_lshlrev_b32_e32 v4, 3, v18
	v_lshlrev_b16_e32 v6, 1, v31
	global_load_dwordx2 v[4:5], v4, s[10:11]
	v_lshlrev_b32_e32 v6, 2, v6
	global_load_dwordx2 v[6:7], v6, s[10:11]
	s_waitcnt lgkmcnt(1)
	v_lshrrev_b32_e32 v22, 16, v13
	s_waitcnt lgkmcnt(0)
	v_lshrrev_b32_e32 v23, 16, v12
	v_mul_u32_u24_e32 v17, 15, v17
	v_add_lshl_u32 v32, v17, v18, 2
	v_lshrrev_b32_e32 v19, 16, v10
	s_movk_i32 s12, 0x3aee
	s_mov_b32 s13, 0xbaee
	s_barrier
	s_waitcnt vmcnt(1)
	v_mul_f16_sdwa v17, v22, v4 dst_sel:DWORD dst_unused:UNUSED_PAD src0_sel:DWORD src1_sel:WORD_1
	v_mul_f16_sdwa v18, v13, v4 dst_sel:DWORD dst_unused:UNUSED_PAD src0_sel:DWORD src1_sel:WORD_1
	;; [unrolled: 1-line block ×4, first 2 shown]
	v_fma_f16 v13, v13, v4, -v17
	v_fma_f16 v17, v22, v4, v18
	v_fma_f16 v12, v12, v5, -v33
	v_fma_f16 v18, v23, v5, v34
	s_waitcnt vmcnt(0)
	v_mul_f16_sdwa v22, v14, v6 dst_sel:DWORD dst_unused:UNUSED_PAD src0_sel:DWORD src1_sel:WORD_1
	v_mul_f16_sdwa v23, v11, v6 dst_sel:DWORD dst_unused:UNUSED_PAD src0_sel:DWORD src1_sel:WORD_1
	;; [unrolled: 1-line block ×4, first 2 shown]
	v_fma_f16 v11, v11, v6, -v22
	v_fma_f16 v14, v14, v6, v23
	v_fma_f16 v15, v15, v7, -v33
	v_fma_f16 v16, v16, v7, v34
	v_add_f16_e32 v22, v10, v13
	v_add_f16_e32 v23, v13, v12
	v_sub_f16_e32 v33, v17, v18
	v_add_f16_e32 v34, v19, v17
	v_add_f16_e32 v17, v17, v18
	v_sub_f16_e32 v13, v13, v12
	v_add_f16_e32 v22, v22, v12
	v_fma_f16 v10, v23, -0.5, v10
	v_add_f16_e32 v18, v34, v18
	v_fma_f16 v12, v17, -0.5, v19
	v_add_f16_e32 v19, v11, v15
	v_sub_f16_e32 v23, v14, v16
	v_add_f16_e32 v34, v9, v14
	v_add_f16_e32 v14, v14, v16
	;; [unrolled: 1-line block ×3, first 2 shown]
	v_sub_f16_e32 v11, v11, v15
	v_fma_f16 v35, v33, s12, v10
	v_fma_f16 v10, v33, s13, v10
	;; [unrolled: 1-line block ×3, first 2 shown]
	v_fma_f16 v8, v19, -0.5, v8
	v_fma_f16 v9, v14, -0.5, v9
	v_fma_f16 v36, v13, s12, v12
	v_add_f16_e32 v12, v17, v15
	v_add_f16_e32 v13, v34, v16
	v_pack_b32_f16 v16, v22, v18
	v_fma_f16 v14, v23, s12, v8
	v_fma_f16 v15, v23, s13, v8
	;; [unrolled: 1-line block ×4, first 2 shown]
	v_pack_b32_f16 v8, v35, v33
	v_pack_b32_f16 v9, v10, v36
	ds_write2_b32 v32, v16, v8 offset1:5
	ds_write_b32 v32, v9 offset:40
	s_and_saveexec_b64 s[12:13], s[0:1]
	s_cbranch_execz .LBB0_5
; %bb.4:
	v_mad_legacy_u16 v8, v30, 15, v31
	s_mov_b32 s14, 0x5040100
	v_lshlrev_b32_e32 v8, 2, v8
	v_perm_b32 v9, v13, v12, s14
	v_perm_b32 v10, v17, v14, s14
	ds_write2_b32 v8, v9, v10 offset1:5
	v_perm_b32 v9, v18, v15, s14
	ds_write_b32 v8, v9 offset:40
.LBB0_5:
	s_or_b64 exec, exec, s[12:13]
	s_waitcnt lgkmcnt(0)
	s_barrier
	ds_read_b32 v16, v3
	ds_read_b32 v22, v3 offset:1620
	ds_read_b32 v19, v3 offset:3240
	s_and_saveexec_b64 s[12:13], s[0:1]
	s_cbranch_execz .LBB0_7
; %bb.6:
	ds_read_b32 v12, v3 offset:972
	ds_read_b32 v14, v3 offset:2592
	;; [unrolled: 1-line block ×3, first 2 shown]
	s_waitcnt lgkmcnt(2)
	v_lshrrev_b32_e32 v13, 16, v12
	s_waitcnt lgkmcnt(1)
	v_lshrrev_b32_e32 v17, 16, v14
	;; [unrolled: 2-line block ×3, first 2 shown]
.LBB0_7:
	s_or_b64 exec, exec, s[12:13]
	s_movk_i32 s12, 0x89
	v_mul_lo_u16_sdwa v8, v0, s12 dst_sel:DWORD dst_unused:UNUSED_PAD src0_sel:BYTE_0 src1_sel:DWORD
	v_lshrrev_b16_e32 v23, 11, v8
	s_mov_b32 s12, 0x8889
	v_mul_lo_u16_e32 v8, 15, v23
	v_mul_u32_u24_sdwa v9, v20, s12 dst_sel:DWORD dst_unused:UNUSED_PAD src0_sel:WORD_0 src1_sel:DWORD
	v_sub_u16_e32 v8, v0, v8
	v_lshrrev_b32_e32 v34, 19, v9
	v_and_b32_e32 v33, 0xff, v8
	v_mul_lo_u16_e32 v9, 15, v34
	v_lshlrev_b32_e32 v8, 3, v33
	v_sub_u16_e32 v35, v20, v9
	global_load_dwordx2 v[10:11], v8, s[10:11] offset:40
	v_lshlrev_b16_e32 v8, 3, v35
	v_mov_b32_e32 v9, 0
	v_lshl_add_u64 v[8:9], s[10:11], 0, v[8:9]
	global_load_dwordx2 v[8:9], v[8:9], off offset:40
	s_waitcnt lgkmcnt(1)
	v_lshrrev_b32_e32 v37, 16, v22
	s_waitcnt lgkmcnt(0)
	v_lshrrev_b32_e32 v38, 16, v19
	v_mul_u32_u24_e32 v23, 45, v23
	v_add_lshl_u32 v33, v23, v33, 2
	v_lshrrev_b32_e32 v36, 16, v16
	s_movk_i32 s12, 0x3aee
	s_mov_b32 s13, 0xbaee
	s_barrier
	s_waitcnt vmcnt(1)
	v_mul_f16_sdwa v23, v37, v10 dst_sel:DWORD dst_unused:UNUSED_PAD src0_sel:DWORD src1_sel:WORD_1
	v_mul_f16_sdwa v39, v22, v10 dst_sel:DWORD dst_unused:UNUSED_PAD src0_sel:DWORD src1_sel:WORD_1
	;; [unrolled: 1-line block ×4, first 2 shown]
	s_waitcnt vmcnt(0)
	v_mul_f16_sdwa v42, v17, v8 dst_sel:DWORD dst_unused:UNUSED_PAD src0_sel:DWORD src1_sel:WORD_1
	v_mul_f16_sdwa v43, v14, v8 dst_sel:DWORD dst_unused:UNUSED_PAD src0_sel:DWORD src1_sel:WORD_1
	;; [unrolled: 1-line block ×4, first 2 shown]
	v_fma_f16 v22, v22, v10, -v23
	v_fma_f16 v23, v37, v10, v39
	v_fma_f16 v19, v19, v11, -v40
	v_fma_f16 v37, v38, v11, v41
	;; [unrolled: 2-line block ×4, first 2 shown]
	v_add_f16_e32 v38, v16, v22
	v_add_f16_e32 v39, v22, v19
	v_sub_f16_e32 v40, v23, v37
	v_add_f16_e32 v41, v36, v23
	v_add_f16_e32 v23, v23, v37
	v_sub_f16_e32 v22, v22, v19
	v_add_f16_e32 v42, v12, v14
	v_add_f16_e32 v43, v14, v15
	;; [unrolled: 1-line block ×4, first 2 shown]
	v_fma_f16 v19, v39, -0.5, v16
	v_fma_f16 v23, v23, -0.5, v36
	v_sub_f16_e32 v44, v17, v18
	v_add_f16_e32 v45, v13, v17
	v_sub_f16_e32 v14, v14, v15
	v_add_f16_e32 v37, v41, v37
	v_add_f16_e32 v16, v42, v15
	v_fma_f16 v12, v43, -0.5, v12
	v_fma_f16 v13, v46, -0.5, v13
	v_fma_f16 v15, v40, s12, v19
	v_fma_f16 v36, v40, s13, v19
	;; [unrolled: 1-line block ×4, first 2 shown]
	v_add_f16_e32 v17, v45, v18
	v_fma_f16 v18, v44, s12, v12
	v_fma_f16 v19, v44, s13, v12
	;; [unrolled: 1-line block ×4, first 2 shown]
	v_pack_b32_f16 v12, v47, v37
	v_pack_b32_f16 v13, v15, v39
	;; [unrolled: 1-line block ×3, first 2 shown]
	v_mad_legacy_u16 v36, v34, 45, v35
	ds_write2_b32 v33, v12, v13 offset1:15
	ds_write_b32 v33, v14 offset:120
	s_and_saveexec_b64 s[12:13], s[0:1]
	s_cbranch_execz .LBB0_9
; %bb.8:
	s_mov_b32 s14, 0x5040100
	v_lshlrev_b32_e32 v12, 2, v36
	v_perm_b32 v13, v17, v16, s14
	v_perm_b32 v14, v23, v18, s14
	ds_write2_b32 v12, v13, v14 offset1:15
	v_perm_b32 v13, v38, v19, s14
	ds_write_b32 v12, v13 offset:120
.LBB0_9:
	s_or_b64 exec, exec, s[12:13]
	s_waitcnt lgkmcnt(0)
	s_barrier
	ds_read_b32 v22, v3
	ds_read_b32 v40, v3 offset:1620
	ds_read_b32 v39, v3 offset:3240
	s_and_saveexec_b64 s[12:13], s[0:1]
	s_cbranch_execz .LBB0_11
; %bb.10:
	ds_read_b32 v16, v3 offset:972
	ds_read_b32 v18, v3 offset:2592
	;; [unrolled: 1-line block ×3, first 2 shown]
	s_waitcnt lgkmcnt(2)
	v_lshrrev_b32_e32 v17, 16, v16
	s_waitcnt lgkmcnt(1)
	v_lshrrev_b32_e32 v23, 16, v18
	;; [unrolled: 2-line block ×3, first 2 shown]
.LBB0_11:
	s_or_b64 exec, exec, s[12:13]
	s_movk_i32 s12, 0x6d
	v_mul_lo_u16_sdwa v12, v0, s12 dst_sel:DWORD dst_unused:UNUSED_PAD src0_sel:BYTE_0 src1_sel:DWORD
	v_sub_u16_sdwa v13, v0, v12 dst_sel:DWORD dst_unused:UNUSED_PAD src0_sel:DWORD src1_sel:BYTE_1
	v_lshrrev_b16_e32 v13, 1, v13
	v_and_b32_e32 v13, 0x7f, v13
	v_add_u16_sdwa v12, v13, v12 dst_sel:DWORD dst_unused:UNUSED_PAD src0_sel:DWORD src1_sel:BYTE_1
	v_lshrrev_b16_e32 v37, 5, v12
	s_movk_i32 s12, 0x2d83
	v_mul_lo_u16_e32 v12, 45, v37
	v_mul_u32_u24_sdwa v13, v20, s12 dst_sel:DWORD dst_unused:UNUSED_PAD src0_sel:WORD_0 src1_sel:DWORD
	v_sub_u16_e32 v12, v0, v12
	v_lshrrev_b32_e32 v34, 19, v13
	v_and_b32_e32 v41, 0xff, v12
	v_mul_lo_u16_e32 v13, 45, v34
	v_lshlrev_b32_e32 v12, 3, v41
	v_sub_u16_e32 v35, v20, v13
	global_load_dwordx2 v[14:15], v12, s[10:11] offset:160
	v_lshlrev_b16_e32 v12, 3, v35
	v_mov_b32_e32 v13, 0
	v_lshl_add_u64 v[12:13], s[10:11], 0, v[12:13]
	global_load_dwordx2 v[12:13], v[12:13], off offset:160
	s_waitcnt lgkmcnt(1)
	v_lshrrev_b32_e32 v43, 16, v40
	s_waitcnt lgkmcnt(0)
	v_lshrrev_b32_e32 v44, 16, v39
	v_mul_u32_u24_e32 v37, 0x87, v37
	v_add_lshl_u32 v37, v37, v41, 2
	v_lshrrev_b32_e32 v42, 16, v22
	s_movk_i32 s12, 0x3aee
	s_mov_b32 s13, 0xbaee
	s_movk_i32 s14, 0x87
	s_barrier
	s_waitcnt vmcnt(1)
	v_mul_f16_sdwa v41, v43, v14 dst_sel:DWORD dst_unused:UNUSED_PAD src0_sel:DWORD src1_sel:WORD_1
	v_mul_f16_sdwa v45, v40, v14 dst_sel:DWORD dst_unused:UNUSED_PAD src0_sel:DWORD src1_sel:WORD_1
	;; [unrolled: 1-line block ×4, first 2 shown]
	s_waitcnt vmcnt(0)
	v_mul_f16_sdwa v48, v23, v12 dst_sel:DWORD dst_unused:UNUSED_PAD src0_sel:DWORD src1_sel:WORD_1
	v_mul_f16_sdwa v49, v18, v12 dst_sel:DWORD dst_unused:UNUSED_PAD src0_sel:DWORD src1_sel:WORD_1
	;; [unrolled: 1-line block ×4, first 2 shown]
	v_fma_f16 v40, v40, v14, -v41
	v_fma_f16 v41, v43, v14, v45
	v_fma_f16 v39, v39, v15, -v46
	v_fma_f16 v43, v44, v15, v47
	;; [unrolled: 2-line block ×4, first 2 shown]
	v_add_f16_e32 v44, v22, v40
	v_add_f16_e32 v45, v40, v39
	v_sub_f16_e32 v46, v41, v43
	v_add_f16_e32 v47, v42, v41
	v_add_f16_e32 v41, v41, v43
	v_sub_f16_e32 v40, v40, v39
	v_add_f16_e32 v48, v16, v18
	v_add_f16_e32 v49, v18, v19
	;; [unrolled: 1-line block ×5, first 2 shown]
	v_fma_f16 v44, v45, -0.5, v22
	v_fma_f16 v41, v41, -0.5, v42
	v_sub_f16_e32 v50, v23, v38
	v_sub_f16_e32 v18, v18, v19
	v_add_f16_e32 v45, v47, v43
	v_add_f16_e32 v22, v48, v19
	v_fma_f16 v16, v49, -0.5, v16
	v_add_f16_e32 v23, v51, v38
	v_fma_f16 v17, v52, -0.5, v17
	v_fma_f16 v19, v46, s12, v44
	v_fma_f16 v38, v46, s13, v44
	v_fma_f16 v46, v40, s13, v41
	v_fma_f16 v40, v40, s12, v41
	v_fma_f16 v41, v50, s12, v16
	v_fma_f16 v42, v50, s13, v16
	v_fma_f16 v43, v18, s13, v17
	v_fma_f16 v44, v18, s12, v17
	v_pack_b32_f16 v16, v39, v45
	v_pack_b32_f16 v17, v19, v46
	;; [unrolled: 1-line block ×3, first 2 shown]
	ds_write2_b32 v37, v16, v17 offset1:45
	ds_write_b32 v37, v18 offset:360
	s_and_saveexec_b64 s[12:13], s[0:1]
	s_cbranch_execz .LBB0_13
; %bb.12:
	v_mad_legacy_u16 v16, v34, s14, v35
	s_mov_b32 s14, 0x5040100
	v_lshlrev_b32_e32 v16, 2, v16
	v_perm_b32 v17, v23, v22, s14
	v_perm_b32 v18, v43, v41, s14
	ds_write2_b32 v16, v17, v18 offset1:45
	v_perm_b32 v17, v44, v42, s14
	ds_write_b32 v16, v17 offset:360
.LBB0_13:
	s_or_b64 exec, exec, s[12:13]
	s_waitcnt lgkmcnt(0)
	s_barrier
	ds_read_b32 v45, v3
	ds_read_b32 v47, v3 offset:1620
	ds_read_b32 v46, v3 offset:3240
	s_and_saveexec_b64 s[12:13], s[0:1]
	s_cbranch_execz .LBB0_15
; %bb.14:
	ds_read_b32 v22, v3 offset:972
	ds_read_b32 v41, v3 offset:2592
	;; [unrolled: 1-line block ×3, first 2 shown]
	s_waitcnt lgkmcnt(2)
	v_lshrrev_b32_e32 v23, 16, v22
	s_waitcnt lgkmcnt(1)
	v_lshrrev_b32_e32 v43, 16, v41
	;; [unrolled: 2-line block ×3, first 2 shown]
.LBB0_15:
	s_or_b64 exec, exec, s[12:13]
	s_movk_i32 s12, 0xff79
	s_mov_b32 s13, -1
	v_lshl_add_u64 v[16:17], v[0:1], 0, s[12:13]
	s_movk_i32 s12, 0x87
	v_cmp_gt_u16_e32 vcc, s12, v0
	s_movk_i32 s12, 0x795d
	v_mul_u32_u24_sdwa v18, v20, s12 dst_sel:DWORD dst_unused:UNUSED_PAD src0_sel:WORD_0 src1_sel:DWORD
	v_lshrrev_b32_e32 v38, 22, v18
	v_cndmask_b32_e64 v49, v17, 0, vcc
	v_cndmask_b32_e32 v48, v16, v0, vcc
	v_mul_lo_u16_e32 v18, 0x87, v38
	v_lshl_add_u64 v[16:17], v[48:49], 3, s[10:11]
	v_sub_u16_e32 v39, v20, v18
	global_load_dwordx2 v[16:17], v[16:17], off offset:520
	v_mov_b32_e32 v19, 0
	v_lshlrev_b16_e32 v18, 3, v39
	v_lshl_add_u64 v[18:19], s[10:11], 0, v[18:19]
	global_load_dwordx2 v[18:19], v[18:19], off offset:520
	s_movk_i32 s15, 0x86
	v_mov_b32_e32 v40, 0x195
	v_cmp_lt_u16_e32 vcc, s15, v0
	s_waitcnt lgkmcnt(1)
	v_lshrrev_b32_e32 v50, 16, v47
	s_waitcnt lgkmcnt(0)
	v_lshrrev_b32_e32 v51, 16, v46
	v_cndmask_b32_e32 v40, 0, v40, vcc
	v_add_lshl_u32 v40, v48, v40, 2
	v_lshrrev_b32_e32 v49, 16, v45
	s_movk_i32 s12, 0x3aee
	s_mov_b32 s13, 0xbaee
	s_movk_i32 s14, 0x195
	s_barrier
	s_waitcnt vmcnt(1)
	v_mul_f16_sdwa v48, v50, v16 dst_sel:DWORD dst_unused:UNUSED_PAD src0_sel:DWORD src1_sel:WORD_1
	v_mul_f16_sdwa v52, v47, v16 dst_sel:DWORD dst_unused:UNUSED_PAD src0_sel:DWORD src1_sel:WORD_1
	;; [unrolled: 1-line block ×4, first 2 shown]
	v_fma_f16 v47, v47, v16, -v48
	v_fma_f16 v48, v50, v16, v52
	v_fma_f16 v46, v46, v17, -v53
	v_fma_f16 v50, v51, v17, v54
	v_add_f16_e32 v51, v45, v47
	v_add_f16_e32 v52, v47, v46
	v_sub_f16_e32 v53, v48, v50
	v_add_f16_e32 v54, v49, v48
	v_add_f16_e32 v48, v48, v50
	s_waitcnt vmcnt(0)
	v_mul_f16_sdwa v55, v43, v18 dst_sel:DWORD dst_unused:UNUSED_PAD src0_sel:DWORD src1_sel:WORD_1
	v_mul_f16_sdwa v56, v41, v18 dst_sel:DWORD dst_unused:UNUSED_PAD src0_sel:DWORD src1_sel:WORD_1
	;; [unrolled: 1-line block ×4, first 2 shown]
	v_sub_f16_e32 v47, v47, v46
	v_add_f16_e32 v46, v51, v46
	v_fma_f16 v45, v52, -0.5, v45
	v_add_f16_e32 v50, v54, v50
	v_fma_f16 v48, v48, -0.5, v49
	v_fma_f16 v41, v41, v18, -v55
	v_fma_f16 v43, v43, v18, v56
	v_fma_f16 v42, v42, v19, -v57
	v_fma_f16 v44, v44, v19, v58
	v_fma_f16 v49, v53, s12, v45
	;; [unrolled: 1-line block ×3, first 2 shown]
	v_pack_b32_f16 v46, v46, v50
	v_add_f16_e32 v50, v41, v42
	v_add_f16_e32 v54, v43, v44
	v_fma_f16 v45, v53, s13, v45
	v_fma_f16 v47, v47, s12, v48
	v_add_f16_e32 v48, v22, v41
	v_sub_f16_e32 v52, v43, v44
	v_add_f16_e32 v53, v23, v43
	v_sub_f16_e32 v55, v41, v42
	v_pack_b32_f16 v41, v49, v51
	v_fma_f16 v22, v50, -0.5, v22
	v_fma_f16 v23, v54, -0.5, v23
	v_pack_b32_f16 v47, v45, v47
	v_add_f16_e32 v42, v48, v42
	v_add_f16_e32 v43, v53, v44
	ds_write2_b32 v40, v46, v41 offset1:135
	v_fma_f16 v41, v52, s12, v22
	v_fma_f16 v44, v52, s13, v22
	;; [unrolled: 1-line block ×4, first 2 shown]
	ds_write_b32 v40, v47 offset:1080
	s_and_saveexec_b64 s[12:13], s[0:1]
	s_cbranch_execz .LBB0_17
; %bb.16:
	v_mad_legacy_u16 v22, v38, s14, v39
	s_mov_b32 s14, 0x5040100
	v_lshlrev_b32_e32 v22, 2, v22
	v_perm_b32 v23, v43, v42, s14
	v_perm_b32 v47, v45, v41, s14
	ds_write2_b32 v22, v23, v47 offset1:135
	v_perm_b32 v23, v46, v44, s14
	ds_write_b32 v22, v23 offset:1080
.LBB0_17:
	s_or_b64 exec, exec, s[12:13]
	s_waitcnt lgkmcnt(0)
	s_barrier
	ds_read_b32 v47, v3
	ds_read_b32 v49, v3 offset:1620
	ds_read_b32 v48, v3 offset:3240
	s_and_saveexec_b64 s[12:13], s[0:1]
	s_cbranch_execz .LBB0_19
; %bb.18:
	ds_read_b32 v42, v3 offset:972
	ds_read_b32 v41, v3 offset:2592
	;; [unrolled: 1-line block ×3, first 2 shown]
	s_waitcnt lgkmcnt(2)
	v_lshrrev_b32_e32 v43, 16, v42
	s_waitcnt lgkmcnt(1)
	v_lshrrev_b32_e32 v45, 16, v41
	;; [unrolled: 2-line block ×3, first 2 shown]
.LBB0_19:
	s_or_b64 exec, exec, s[12:13]
	s_movk_i32 s12, 0xff5e
	s_mov_b32 s13, -1
	v_lshlrev_b32_e32 v22, 3, v0
	v_lshl_add_u64 v[50:51], v[0:1], 0, s[12:13]
	global_load_dwordx2 v[22:23], v22, s[10:11] offset:1600
	v_cndmask_b32_e64 v21, v51, v21, s[0:1]
	v_cndmask_b32_e64 v20, v50, v20, s[0:1]
	v_lshl_add_u64 v[20:21], v[20:21], 3, s[10:11]
	global_load_dwordx2 v[20:21], v[20:21], off offset:1600
	s_waitcnt lgkmcnt(1)
	v_lshrrev_b32_e32 v50, 16, v49
	s_waitcnt lgkmcnt(0)
	v_lshrrev_b32_e32 v51, 16, v48
	v_lshrrev_b32_e32 v1, 16, v47
	s_movk_i32 s10, 0x3aee
	s_mov_b32 s11, 0xbaee
	s_waitcnt vmcnt(1)
	v_mul_f16_sdwa v52, v50, v22 dst_sel:DWORD dst_unused:UNUSED_PAD src0_sel:DWORD src1_sel:WORD_1
	v_mul_f16_sdwa v53, v49, v22 dst_sel:DWORD dst_unused:UNUSED_PAD src0_sel:DWORD src1_sel:WORD_1
	;; [unrolled: 1-line block ×4, first 2 shown]
	v_fma_f16 v49, v49, v22, -v52
	v_fma_f16 v50, v50, v22, v53
	v_fma_f16 v48, v48, v23, -v54
	v_fma_f16 v51, v51, v23, v55
	v_add_f16_e32 v52, v47, v49
	v_add_f16_e32 v53, v49, v48
	v_sub_f16_e32 v54, v50, v51
	v_add_f16_e32 v55, v1, v50
	v_add_f16_e32 v50, v50, v51
	s_waitcnt vmcnt(0)
	v_mul_f16_sdwa v56, v45, v20 dst_sel:DWORD dst_unused:UNUSED_PAD src0_sel:DWORD src1_sel:WORD_1
	v_mul_f16_sdwa v57, v41, v20 dst_sel:DWORD dst_unused:UNUSED_PAD src0_sel:DWORD src1_sel:WORD_1
	;; [unrolled: 1-line block ×4, first 2 shown]
	v_sub_f16_e32 v49, v49, v48
	v_add_f16_e32 v48, v52, v48
	v_fma_f16 v52, v53, -0.5, v47
	v_add_f16_e32 v51, v55, v51
	v_fma_f16 v1, v50, -0.5, v1
	v_fma_f16 v47, v41, v20, -v56
	v_fma_f16 v45, v45, v20, v57
	v_fma_f16 v44, v44, v21, -v58
	v_fma_f16 v46, v46, v21, v59
	v_fma_f16 v41, v54, s10, v52
	;; [unrolled: 1-line block ×5, first 2 shown]
	v_pack_b32_f16 v51, v48, v51
	v_add_f16_e32 v53, v47, v44
	v_add_f16_e32 v54, v45, v46
	v_sub_f16_e32 v48, v45, v46
	v_sub_f16_e32 v49, v47, v44
	ds_write_b32 v3, v51
	v_pack_b32_f16 v41, v41, v52
	v_pack_b32_f16 v52, v50, v1
	v_fma_f16 v50, v53, -0.5, v42
	v_fma_f16 v51, v54, -0.5, v43
	ds_write_b32 v3, v41 offset:1620
	v_fma_f16 v1, v48, s11, v50
	v_fma_f16 v41, v49, s10, v51
	ds_write_b32 v3, v52 offset:3240
	s_and_saveexec_b64 s[10:11], s[0:1]
	s_cbranch_execz .LBB0_21
; %bb.20:
	v_add_f16_e32 v43, v43, v45
	v_add_f16_e32 v42, v42, v47
	v_mul_f16_e32 v48, 0x3aee, v48
	v_mul_f16_e32 v49, 0x3aee, v49
	v_add_f16_e32 v43, v43, v46
	v_add_f16_e32 v42, v42, v44
	v_sub_f16_e32 v49, v51, v49
	v_add_f16_e32 v45, v48, v50
	v_pack_b32_f16 v42, v42, v43
	ds_write_b32 v3, v42 offset:972
	v_pack_b32_f16 v42, v45, v49
	s_mov_b32 s12, 0x5040100
	ds_write_b32 v3, v42 offset:2592
	v_perm_b32 v42, v41, v1, s12
	ds_write_b32 v3, v42 offset:4212
.LBB0_21:
	s_or_b64 exec, exec, s[10:11]
	v_lshlrev_b32_e32 v42, 2, v0
	v_mov_b32_e32 v43, 0
	v_lshl_add_u64 v[42:43], s[8:9], 0, v[42:43]
	s_mov_b64 s[8:9], 0x12fc
	v_lshl_add_u64 v[44:45], v[42:43], 0, s[8:9]
	s_waitcnt lgkmcnt(0)
	s_barrier
	global_load_dword v46, v[44:45], off offset:972
	v_add_co_u32_e32 v42, vcc, 0x1000, v42
	s_movk_i32 s8, 0x3b9c
	s_nop 0
	v_addc_co_u32_e32 v43, vcc, 0, v43, vcc
	global_load_dword v47, v[42:43], off offset:764
	global_load_dword v48, v[44:45], off offset:1944
	;; [unrolled: 1-line block ×4, first 2 shown]
	ds_read2_b32 v[42:43], v3 offset1:243
	v_add_u32_e32 v44, 0x780, v3
	s_movk_i32 s9, 0x38b4
	s_mov_b32 s10, 0xffff
	s_movk_i32 s11, 0x34f2
	s_waitcnt lgkmcnt(0)
	v_lshrrev_b32_e32 v45, 16, v42
	v_lshrrev_b32_e32 v51, 16, v43
	s_waitcnt vmcnt(4)
	v_mul_f16_sdwa v52, v51, v46 dst_sel:DWORD dst_unused:UNUSED_PAD src0_sel:DWORD src1_sel:WORD_1
	v_mul_f16_sdwa v53, v43, v46 dst_sel:DWORD dst_unused:UNUSED_PAD src0_sel:DWORD src1_sel:WORD_1
	v_fma_f16 v43, v43, v46, -v52
	s_waitcnt vmcnt(3)
	v_mul_f16_sdwa v54, v45, v47 dst_sel:DWORD dst_unused:UNUSED_PAD src0_sel:DWORD src1_sel:WORD_1
	v_mul_f16_sdwa v55, v42, v47 dst_sel:DWORD dst_unused:UNUSED_PAD src0_sel:DWORD src1_sel:WORD_1
	v_fma_f16 v46, v51, v46, v53
	v_fma_f16 v42, v42, v47, -v54
	v_fma_f16 v45, v45, v47, v55
	v_pack_b32_f16 v43, v43, v46
	v_pack_b32_f16 v42, v42, v45
	ds_write2_b32 v3, v42, v43 offset1:243
	ds_read2_b32 v[42:43], v44 offset0:6 offset1:249
	ds_read_b32 v45, v3 offset:3888
	s_waitcnt lgkmcnt(1)
	v_lshrrev_b32_e32 v46, 16, v42
	s_waitcnt vmcnt(2)
	v_mul_f16_sdwa v47, v42, v48 dst_sel:DWORD dst_unused:UNUSED_PAD src0_sel:DWORD src1_sel:WORD_1
	v_lshrrev_b32_e32 v51, 16, v43
	s_waitcnt vmcnt(1)
	v_mul_f16_sdwa v52, v43, v49 dst_sel:DWORD dst_unused:UNUSED_PAD src0_sel:DWORD src1_sel:WORD_1
	s_waitcnt lgkmcnt(0)
	v_lshrrev_b32_e32 v53, 16, v45
	s_waitcnt vmcnt(0)
	v_mul_f16_sdwa v54, v45, v50 dst_sel:DWORD dst_unused:UNUSED_PAD src0_sel:DWORD src1_sel:WORD_1
	v_mul_f16_sdwa v55, v46, v48 dst_sel:DWORD dst_unused:UNUSED_PAD src0_sel:DWORD src1_sel:WORD_1
	v_fma_f16 v46, v46, v48, v47
	v_mul_f16_sdwa v47, v51, v49 dst_sel:DWORD dst_unused:UNUSED_PAD src0_sel:DWORD src1_sel:WORD_1
	v_fma_f16 v51, v51, v49, v52
	;; [unrolled: 2-line block ×3, first 2 shown]
	v_fma_f16 v42, v42, v48, -v55
	v_fma_f16 v43, v43, v49, -v47
	;; [unrolled: 1-line block ×3, first 2 shown]
	v_pack_b32_f16 v42, v42, v46
	v_pack_b32_f16 v43, v43, v51
	;; [unrolled: 1-line block ×3, first 2 shown]
	ds_write2_b32 v44, v42, v43 offset0:6 offset1:249
	ds_write_b32 v3, v45 offset:3888
	s_waitcnt lgkmcnt(0)
	s_barrier
	ds_read2_b32 v[42:43], v3 offset1:243
	ds_read2_b32 v[44:45], v44 offset0:6 offset1:249
	ds_read_b32 v46, v3 offset:3888
	s_waitcnt lgkmcnt(0)
	s_barrier
	v_pk_add_f16 v47, v42, v43
	v_pk_add_f16 v48, v44, v45
	v_pk_add_f16 v49, v43, v46 neg_lo:[0,1] neg_hi:[0,1]
	v_pk_add_f16 v50, v44, v45 neg_lo:[0,1] neg_hi:[0,1]
	;; [unrolled: 1-line block ×3, first 2 shown]
	v_pk_add_f16 v53, v43, v46
	v_pk_add_f16 v43, v44, v43 neg_lo:[0,1] neg_hi:[0,1]
	v_pk_add_f16 v44, v47, v44
	v_pk_fma_f16 v47, v48, 0.5, v42 op_sel_hi:[1,0,1] neg_lo:[1,0,0] neg_hi:[1,0,0]
	v_pk_mul_f16 v48, v49, s8 op_sel_hi:[1,0]
	v_pk_add_f16 v52, v46, v45 neg_lo:[0,1] neg_hi:[0,1]
	v_pk_add_f16 v54, v45, v46 neg_lo:[0,1] neg_hi:[0,1]
	v_pk_mul_f16 v55, v50, s9 op_sel_hi:[1,0]
	v_pk_fma_f16 v42, v53, 0.5, v42 op_sel_hi:[1,0,1] neg_lo:[1,0,0] neg_hi:[1,0,0]
	v_pk_mul_f16 v50, v50, s8 op_sel_hi:[1,0]
	v_pk_add_f16 v44, v44, v45
	v_pk_add_f16 v45, v47, v48 op_sel:[0,1] op_sel_hi:[1,0] neg_lo:[0,1] neg_hi:[0,1]
	v_pk_add_f16 v47, v47, v48 op_sel:[0,1] op_sel_hi:[1,0]
	v_pk_mul_f16 v49, v49, s9 op_sel_hi:[1,0]
	v_pk_add_f16 v48, v42, v50 op_sel:[0,1] op_sel_hi:[1,0]
	v_pk_add_f16 v42, v42, v50 op_sel:[0,1] op_sel_hi:[1,0] neg_lo:[0,1] neg_hi:[0,1]
	v_pk_add_f16 v46, v44, v46
	v_pk_add_f16 v44, v45, v55 op_sel:[0,1] op_sel_hi:[1,0] neg_lo:[0,1] neg_hi:[0,1]
	v_pk_add_f16 v45, v47, v55 op_sel:[0,1] op_sel_hi:[1,0]
	v_pk_add_f16 v51, v51, v52
	v_pk_add_f16 v47, v48, v49 op_sel:[0,1] op_sel_hi:[1,0] neg_lo:[0,1] neg_hi:[0,1]
	v_pk_add_f16 v42, v42, v49 op_sel:[0,1] op_sel_hi:[1,0]
	v_bfi_b32 v48, s10, v44, v45
	v_pk_add_f16 v43, v43, v54
	v_bfi_b32 v49, s10, v47, v42
	v_bfi_b32 v42, s10, v42, v47
	;; [unrolled: 1-line block ×3, first 2 shown]
	v_pk_fma_f16 v45, v51, s11, v48 op_sel_hi:[1,0,1]
	v_pk_fma_f16 v47, v43, s11, v49 op_sel_hi:[1,0,1]
	;; [unrolled: 1-line block ×4, first 2 shown]
	ds_write2_b32 v29, v46, v45 offset1:1
	ds_write2_b32 v29, v47, v42 offset0:2 offset1:3
	ds_write_b32 v29, v44 offset:16
	s_waitcnt lgkmcnt(0)
	s_barrier
	ds_read_b32 v43, v3
	ds_read_b32 v46, v3 offset:1620
	ds_read_b32 v45, v3 offset:3240
	v_lshrrev_b32_e32 v29, 16, v42
	v_lshrrev_b32_e32 v47, 16, v44
	s_and_saveexec_b64 s[8:9], s[0:1]
	s_cbranch_execz .LBB0_23
; %bb.22:
	ds_read_b32 v42, v3 offset:972
	ds_read_b32 v44, v3 offset:2592
	;; [unrolled: 1-line block ×3, first 2 shown]
	s_waitcnt lgkmcnt(2)
	v_lshrrev_b32_e32 v29, 16, v42
	s_waitcnt lgkmcnt(1)
	v_lshrrev_b32_e32 v47, 16, v44
	;; [unrolled: 2-line block ×3, first 2 shown]
.LBB0_23:
	s_or_b64 exec, exec, s[8:9]
	s_waitcnt lgkmcnt(1)
	v_lshrrev_b32_e32 v49, 16, v46
	v_mul_f16_sdwa v51, v4, v49 dst_sel:DWORD dst_unused:UNUSED_PAD src0_sel:WORD_1 src1_sel:DWORD
	s_waitcnt lgkmcnt(0)
	v_lshrrev_b32_e32 v50, 16, v45
	v_fma_f16 v51, v4, v46, v51
	v_mul_f16_sdwa v46, v4, v46 dst_sel:DWORD dst_unused:UNUSED_PAD src0_sel:WORD_1 src1_sel:DWORD
	v_fma_f16 v4, v4, v49, -v46
	v_mul_f16_sdwa v46, v5, v50 dst_sel:DWORD dst_unused:UNUSED_PAD src0_sel:WORD_1 src1_sel:DWORD
	v_fma_f16 v46, v5, v45, v46
	v_mul_f16_sdwa v45, v5, v45 dst_sel:DWORD dst_unused:UNUSED_PAD src0_sel:WORD_1 src1_sel:DWORD
	v_fma_f16 v5, v5, v50, -v45
	v_mul_f16_sdwa v45, v6, v47 dst_sel:DWORD dst_unused:UNUSED_PAD src0_sel:WORD_1 src1_sel:DWORD
	;; [unrolled: 4-line block ×3, first 2 shown]
	v_fma_f16 v47, v7, v1, v6
	v_mul_f16_sdwa v1, v7, v1 dst_sel:DWORD dst_unused:UNUSED_PAD src0_sel:WORD_1 src1_sel:DWORD
	v_fma_f16 v7, v7, v41, -v1
	v_add_f16_e32 v1, v43, v51
	v_add_f16_e32 v41, v1, v46
	;; [unrolled: 1-line block ×3, first 2 shown]
	v_lshrrev_b32_e32 v48, 16, v43
	v_fma_f16 v1, v1, -0.5, v43
	v_sub_f16_e32 v6, v4, v5
	s_mov_b32 s8, 0xbaee
	s_movk_i32 s9, 0x3aee
	v_fma_f16 v43, v6, s8, v1
	v_fma_f16 v49, v6, s9, v1
	v_add_f16_e32 v1, v48, v4
	v_add_f16_e32 v50, v1, v5
	;; [unrolled: 1-line block ×3, first 2 shown]
	v_fma_f16 v1, v1, -0.5, v48
	v_sub_f16_e32 v4, v51, v46
	v_fma_f16 v46, v4, s9, v1
	v_fma_f16 v48, v4, s8, v1
	v_add_f16_e32 v4, v45, v47
	v_fma_f16 v4, v4, -0.5, v42
	v_sub_f16_e32 v6, v44, v7
	v_fma_f16 v5, v6, s8, v4
	v_fma_f16 v6, v6, s9, v4
	v_add_f16_e32 v4, v29, v44
	v_add_f16_e32 v4, v4, v7
	;; [unrolled: 1-line block ×4, first 2 shown]
	v_fma_f16 v7, v7, -0.5, v29
	v_sub_f16_e32 v42, v45, v47
	v_fma_f16 v29, v42, s9, v7
	v_fma_f16 v7, v42, s8, v7
	v_pack_b32_f16 v41, v41, v50
	v_pack_b32_f16 v42, v43, v46
	v_add_f16_e32 v1, v1, v47
	s_barrier
	ds_write2_b32 v32, v41, v42 offset1:5
	v_pack_b32_f16 v41, v49, v48
	ds_write_b32 v32, v41 offset:40
	s_and_saveexec_b64 s[8:9], s[0:1]
	s_cbranch_execz .LBB0_25
; %bb.24:
	v_mad_legacy_u16 v30, v30, 15, v31
	s_mov_b32 s10, 0x5040100
	v_lshlrev_b32_e32 v30, 2, v30
	v_perm_b32 v31, v4, v1, s10
	v_perm_b32 v32, v29, v5, s10
	ds_write2_b32 v30, v31, v32 offset1:5
	v_perm_b32 v31, v7, v6, s10
	ds_write_b32 v30, v31 offset:40
.LBB0_25:
	s_or_b64 exec, exec, s[8:9]
	s_waitcnt lgkmcnt(0)
	s_barrier
	ds_read_b32 v30, v3
	ds_read_b32 v32, v3 offset:1620
	ds_read_b32 v31, v3 offset:3240
	s_and_saveexec_b64 s[8:9], s[0:1]
	s_cbranch_execz .LBB0_27
; %bb.26:
	ds_read_b32 v1, v3 offset:972
	ds_read_b32 v5, v3 offset:2592
	;; [unrolled: 1-line block ×3, first 2 shown]
	s_waitcnt lgkmcnt(2)
	v_lshrrev_b32_e32 v4, 16, v1
	s_waitcnt lgkmcnt(1)
	v_lshrrev_b32_e32 v29, 16, v5
	;; [unrolled: 2-line block ×3, first 2 shown]
.LBB0_27:
	s_or_b64 exec, exec, s[8:9]
	s_waitcnt lgkmcnt(1)
	v_lshrrev_b32_e32 v42, 16, v32
	v_mul_f16_sdwa v44, v10, v42 dst_sel:DWORD dst_unused:UNUSED_PAD src0_sel:WORD_1 src1_sel:DWORD
	s_waitcnt lgkmcnt(0)
	v_lshrrev_b32_e32 v43, 16, v31
	v_fma_f16 v44, v10, v32, v44
	v_mul_f16_sdwa v32, v10, v32 dst_sel:DWORD dst_unused:UNUSED_PAD src0_sel:WORD_1 src1_sel:DWORD
	v_fma_f16 v10, v10, v42, -v32
	v_mul_f16_sdwa v32, v11, v43 dst_sel:DWORD dst_unused:UNUSED_PAD src0_sel:WORD_1 src1_sel:DWORD
	v_fma_f16 v32, v11, v31, v32
	v_mul_f16_sdwa v31, v11, v31 dst_sel:DWORD dst_unused:UNUSED_PAD src0_sel:WORD_1 src1_sel:DWORD
	v_fma_f16 v11, v11, v43, -v31
	v_mul_f16_sdwa v31, v8, v29 dst_sel:DWORD dst_unused:UNUSED_PAD src0_sel:WORD_1 src1_sel:DWORD
	;; [unrolled: 4-line block ×3, first 2 shown]
	v_fma_f16 v29, v9, v6, v5
	v_mul_f16_sdwa v5, v9, v6 dst_sel:DWORD dst_unused:UNUSED_PAD src0_sel:WORD_1 src1_sel:DWORD
	v_fma_f16 v9, v9, v7, -v5
	v_add_f16_e32 v5, v30, v44
	v_add_f16_e32 v42, v5, v32
	;; [unrolled: 1-line block ×3, first 2 shown]
	v_lshrrev_b32_e32 v41, 16, v30
	v_fma_f16 v5, v5, -0.5, v30
	v_sub_f16_e32 v6, v10, v11
	s_mov_b32 s8, 0xbaee
	s_movk_i32 s9, 0x3aee
	v_fma_f16 v30, v6, s8, v5
	v_fma_f16 v43, v6, s9, v5
	v_add_f16_e32 v5, v41, v10
	v_add_f16_e32 v45, v5, v11
	;; [unrolled: 1-line block ×3, first 2 shown]
	v_fma_f16 v5, v5, -0.5, v41
	v_sub_f16_e32 v6, v44, v32
	v_fma_f16 v10, v6, s9, v5
	v_fma_f16 v11, v6, s8, v5
	v_add_f16_e32 v6, v31, v29
	v_add_f16_e32 v5, v1, v31
	v_fma_f16 v1, v6, -0.5, v1
	v_sub_f16_e32 v7, v8, v9
	v_fma_f16 v6, v7, s8, v1
	v_fma_f16 v7, v7, s9, v1
	v_add_f16_e32 v1, v4, v8
	v_add_f16_e32 v8, v8, v9
	v_add_f16_e32 v1, v1, v9
	v_fma_f16 v4, v8, -0.5, v4
	v_sub_f16_e32 v9, v31, v29
	v_fma_f16 v8, v9, s9, v4
	v_fma_f16 v4, v9, s8, v4
	v_pack_b32_f16 v9, v42, v45
	v_pack_b32_f16 v10, v30, v10
	v_add_f16_e32 v5, v5, v29
	s_barrier
	ds_write2_b32 v33, v9, v10 offset1:15
	v_pack_b32_f16 v9, v43, v11
	ds_write_b32 v33, v9 offset:120
	s_and_saveexec_b64 s[8:9], s[0:1]
	s_cbranch_execz .LBB0_29
; %bb.28:
	s_mov_b32 s10, 0x5040100
	v_lshlrev_b32_e32 v9, 2, v36
	v_perm_b32 v10, v1, v5, s10
	v_perm_b32 v11, v8, v6, s10
	ds_write2_b32 v9, v10, v11 offset1:15
	v_perm_b32 v10, v4, v7, s10
	ds_write_b32 v9, v10 offset:120
.LBB0_29:
	s_or_b64 exec, exec, s[8:9]
	s_waitcnt lgkmcnt(0)
	s_barrier
	ds_read_b32 v9, v3
	ds_read_b32 v11, v3 offset:1620
	ds_read_b32 v10, v3 offset:3240
	s_and_saveexec_b64 s[8:9], s[0:1]
	s_cbranch_execz .LBB0_31
; %bb.30:
	ds_read_b32 v5, v3 offset:972
	ds_read_b32 v6, v3 offset:2592
	ds_read_b32 v7, v3 offset:4212
	s_waitcnt lgkmcnt(2)
	v_lshrrev_b32_e32 v1, 16, v5
	s_waitcnt lgkmcnt(1)
	v_lshrrev_b32_e32 v8, 16, v6
	;; [unrolled: 2-line block ×3, first 2 shown]
.LBB0_31:
	s_or_b64 exec, exec, s[8:9]
	s_waitcnt lgkmcnt(1)
	v_lshrrev_b32_e32 v30, 16, v11
	v_mul_f16_sdwa v32, v14, v30 dst_sel:DWORD dst_unused:UNUSED_PAD src0_sel:WORD_1 src1_sel:DWORD
	s_waitcnt lgkmcnt(0)
	v_lshrrev_b32_e32 v31, 16, v10
	v_fma_f16 v32, v14, v11, v32
	v_mul_f16_sdwa v11, v14, v11 dst_sel:DWORD dst_unused:UNUSED_PAD src0_sel:WORD_1 src1_sel:DWORD
	v_fma_f16 v11, v14, v30, -v11
	v_mul_f16_sdwa v14, v15, v31 dst_sel:DWORD dst_unused:UNUSED_PAD src0_sel:WORD_1 src1_sel:DWORD
	v_fma_f16 v14, v15, v10, v14
	v_mul_f16_sdwa v10, v15, v10 dst_sel:DWORD dst_unused:UNUSED_PAD src0_sel:WORD_1 src1_sel:DWORD
	v_fma_f16 v10, v15, v31, -v10
	v_mul_f16_sdwa v15, v12, v8 dst_sel:DWORD dst_unused:UNUSED_PAD src0_sel:WORD_1 src1_sel:DWORD
	;; [unrolled: 4-line block ×3, first 2 shown]
	v_fma_f16 v12, v13, v7, v6
	v_mul_f16_sdwa v6, v13, v7 dst_sel:DWORD dst_unused:UNUSED_PAD src0_sel:WORD_1 src1_sel:DWORD
	v_fma_f16 v13, v13, v4, -v6
	v_add_f16_e32 v4, v9, v32
	v_add_f16_e32 v30, v4, v14
	;; [unrolled: 1-line block ×3, first 2 shown]
	v_lshrrev_b32_e32 v29, 16, v9
	v_fma_f16 v4, v4, -0.5, v9
	v_sub_f16_e32 v6, v11, v10
	s_mov_b32 s8, 0xbaee
	s_movk_i32 s9, 0x3aee
	v_fma_f16 v9, v6, s8, v4
	v_fma_f16 v31, v6, s9, v4
	v_add_f16_e32 v4, v29, v11
	v_add_f16_e32 v33, v4, v10
	;; [unrolled: 1-line block ×3, first 2 shown]
	v_fma_f16 v4, v4, -0.5, v29
	v_sub_f16_e32 v6, v32, v14
	v_fma_f16 v10, v6, s9, v4
	v_fma_f16 v11, v6, s8, v4
	v_add_f16_e32 v6, v15, v12
	v_fma_f16 v6, v6, -0.5, v5
	v_sub_f16_e32 v7, v8, v13
	v_add_f16_e32 v4, v5, v15
	v_fma_f16 v5, v7, s8, v6
	v_fma_f16 v6, v7, s9, v6
	v_add_f16_e32 v7, v1, v8
	v_add_f16_e32 v8, v8, v13
	;; [unrolled: 1-line block ×3, first 2 shown]
	v_fma_f16 v1, v8, -0.5, v1
	v_sub_f16_e32 v12, v15, v12
	v_fma_f16 v8, v12, s9, v1
	v_fma_f16 v1, v12, s8, v1
	v_pack_b32_f16 v12, v30, v33
	v_pack_b32_f16 v9, v9, v10
	v_add_f16_e32 v7, v7, v13
	s_barrier
	ds_write2_b32 v37, v12, v9 offset1:45
	v_pack_b32_f16 v9, v31, v11
	ds_write_b32 v37, v9 offset:360
	s_and_saveexec_b64 s[8:9], s[0:1]
	s_cbranch_execz .LBB0_33
; %bb.32:
	s_movk_i32 s10, 0x87
	v_mad_legacy_u16 v9, v34, s10, v35
	s_mov_b32 s10, 0x5040100
	v_lshlrev_b32_e32 v9, 2, v9
	v_perm_b32 v10, v7, v4, s10
	v_perm_b32 v11, v8, v5, s10
	ds_write2_b32 v9, v10, v11 offset1:45
	v_perm_b32 v10, v1, v6, s10
	ds_write_b32 v9, v10 offset:360
.LBB0_33:
	s_or_b64 exec, exec, s[8:9]
	s_waitcnt lgkmcnt(0)
	s_barrier
	ds_read_b32 v9, v3
	ds_read_b32 v11, v3 offset:1620
	ds_read_b32 v10, v3 offset:3240
	s_and_saveexec_b64 s[8:9], s[0:1]
	s_cbranch_execz .LBB0_35
; %bb.34:
	ds_read_b32 v4, v3 offset:972
	ds_read_b32 v5, v3 offset:2592
	;; [unrolled: 1-line block ×3, first 2 shown]
	s_waitcnt lgkmcnt(2)
	v_lshrrev_b32_e32 v7, 16, v4
	s_waitcnt lgkmcnt(1)
	v_lshrrev_b32_e32 v8, 16, v5
	s_waitcnt lgkmcnt(0)
	v_lshrrev_b32_e32 v1, 16, v6
.LBB0_35:
	s_or_b64 exec, exec, s[8:9]
	s_waitcnt lgkmcnt(1)
	v_lshrrev_b32_e32 v13, 16, v11
	v_mul_f16_sdwa v15, v16, v13 dst_sel:DWORD dst_unused:UNUSED_PAD src0_sel:WORD_1 src1_sel:DWORD
	s_waitcnt lgkmcnt(0)
	v_lshrrev_b32_e32 v14, 16, v10
	v_fma_f16 v15, v16, v11, v15
	v_mul_f16_sdwa v11, v16, v11 dst_sel:DWORD dst_unused:UNUSED_PAD src0_sel:WORD_1 src1_sel:DWORD
	v_fma_f16 v11, v16, v13, -v11
	v_mul_f16_sdwa v13, v17, v14 dst_sel:DWORD dst_unused:UNUSED_PAD src0_sel:WORD_1 src1_sel:DWORD
	v_fma_f16 v13, v17, v10, v13
	v_mul_f16_sdwa v10, v17, v10 dst_sel:DWORD dst_unused:UNUSED_PAD src0_sel:WORD_1 src1_sel:DWORD
	v_fma_f16 v10, v17, v14, -v10
	v_mul_f16_sdwa v14, v18, v8 dst_sel:DWORD dst_unused:UNUSED_PAD src0_sel:WORD_1 src1_sel:DWORD
	;; [unrolled: 4-line block ×3, first 2 shown]
	v_fma_f16 v16, v19, v6, v5
	v_mul_f16_sdwa v5, v19, v6 dst_sel:DWORD dst_unused:UNUSED_PAD src0_sel:WORD_1 src1_sel:DWORD
	v_fma_f16 v17, v19, v1, -v5
	v_add_f16_e32 v1, v9, v15
	v_add_f16_e32 v18, v1, v13
	;; [unrolled: 1-line block ×3, first 2 shown]
	v_lshrrev_b32_e32 v12, 16, v9
	v_fma_f16 v1, v1, -0.5, v9
	v_sub_f16_e32 v5, v11, v10
	s_mov_b32 s8, 0xbaee
	s_movk_i32 s9, 0x3aee
	v_fma_f16 v9, v5, s8, v1
	v_fma_f16 v19, v5, s9, v1
	v_add_f16_e32 v1, v12, v11
	v_add_f16_e32 v29, v1, v10
	;; [unrolled: 1-line block ×3, first 2 shown]
	v_fma_f16 v1, v1, -0.5, v12
	v_sub_f16_e32 v5, v15, v13
	v_fma_f16 v10, v5, s9, v1
	v_fma_f16 v11, v5, s8, v1
	v_add_f16_e32 v5, v14, v16
	v_fma_f16 v5, v5, -0.5, v4
	v_sub_f16_e32 v6, v8, v17
	v_add_f16_e32 v1, v4, v14
	v_fma_f16 v4, v6, s8, v5
	v_fma_f16 v6, v6, s9, v5
	v_add_f16_e32 v5, v7, v8
	v_add_f16_e32 v8, v8, v17
	v_fma_f16 v8, v8, -0.5, v7
	v_sub_f16_e32 v12, v14, v16
	v_fma_f16 v7, v12, s9, v8
	v_fma_f16 v8, v12, s8, v8
	v_pack_b32_f16 v12, v18, v29
	v_pack_b32_f16 v9, v9, v10
	v_add_f16_e32 v1, v1, v16
	v_add_f16_e32 v5, v5, v17
	s_barrier
	ds_write2_b32 v40, v12, v9 offset1:135
	v_pack_b32_f16 v9, v19, v11
	ds_write_b32 v40, v9 offset:1080
	s_and_saveexec_b64 s[8:9], s[0:1]
	s_cbranch_execz .LBB0_37
; %bb.36:
	s_movk_i32 s10, 0x195
	v_mad_legacy_u16 v9, v38, s10, v39
	s_mov_b32 s10, 0x5040100
	v_lshlrev_b32_e32 v9, 2, v9
	v_perm_b32 v10, v5, v1, s10
	v_perm_b32 v11, v7, v4, s10
	ds_write2_b32 v9, v10, v11 offset1:135
	v_perm_b32 v10, v8, v6, s10
	ds_write_b32 v9, v10 offset:1080
.LBB0_37:
	s_or_b64 exec, exec, s[8:9]
	s_waitcnt lgkmcnt(0)
	s_barrier
	ds_read_b32 v9, v3
	ds_read_b32 v11, v3 offset:1620
	ds_read_b32 v10, v3 offset:3240
	s_and_saveexec_b64 s[8:9], s[0:1]
	s_cbranch_execz .LBB0_39
; %bb.38:
	ds_read_b32 v1, v3 offset:972
	ds_read_b32 v4, v3 offset:2592
	;; [unrolled: 1-line block ×3, first 2 shown]
	s_waitcnt lgkmcnt(2)
	v_lshrrev_b32_e32 v5, 16, v1
	s_waitcnt lgkmcnt(1)
	v_lshrrev_b32_e32 v7, 16, v4
	;; [unrolled: 2-line block ×3, first 2 shown]
.LBB0_39:
	s_or_b64 exec, exec, s[8:9]
	s_waitcnt lgkmcnt(1)
	v_lshrrev_b32_e32 v13, 16, v11
	v_mul_f16_sdwa v15, v22, v13 dst_sel:DWORD dst_unused:UNUSED_PAD src0_sel:WORD_1 src1_sel:DWORD
	s_waitcnt lgkmcnt(0)
	v_lshrrev_b32_e32 v14, 16, v10
	v_fma_f16 v15, v22, v11, v15
	v_mul_f16_sdwa v11, v22, v11 dst_sel:DWORD dst_unused:UNUSED_PAD src0_sel:WORD_1 src1_sel:DWORD
	v_fma_f16 v11, v22, v13, -v11
	v_mul_f16_sdwa v13, v23, v14 dst_sel:DWORD dst_unused:UNUSED_PAD src0_sel:WORD_1 src1_sel:DWORD
	v_fma_f16 v13, v23, v10, v13
	v_mul_f16_sdwa v10, v23, v10 dst_sel:DWORD dst_unused:UNUSED_PAD src0_sel:WORD_1 src1_sel:DWORD
	v_fma_f16 v10, v23, v14, -v10
	v_add_f16_e32 v16, v15, v13
	v_lshrrev_b32_e32 v12, 16, v9
	v_add_f16_e32 v14, v9, v15
	v_fma_f16 v9, v16, -0.5, v9
	v_sub_f16_e32 v16, v11, v10
	s_mov_b32 s10, 0xbaee
	s_movk_i32 s11, 0x3aee
	v_fma_f16 v17, v16, s10, v9
	v_fma_f16 v9, v16, s11, v9
	v_add_f16_e32 v16, v12, v11
	v_add_f16_e32 v16, v16, v10
	;; [unrolled: 1-line block ×4, first 2 shown]
	v_fma_f16 v10, v10, -0.5, v12
	v_sub_f16_e32 v11, v15, v13
	v_fma_f16 v12, v11, s11, v10
	v_fma_f16 v10, v11, s10, v10
	v_pack_b32_f16 v11, v14, v16
	ds_write_b32 v3, v11
	v_pack_b32_f16 v11, v17, v12
	v_pack_b32_f16 v9, v9, v10
	ds_write_b32 v3, v11 offset:1620
	ds_write_b32 v3, v9 offset:3240
	s_and_saveexec_b64 s[8:9], s[0:1]
	s_cbranch_execz .LBB0_41
; %bb.40:
	v_mul_f16_sdwa v9, v20, v4 dst_sel:DWORD dst_unused:UNUSED_PAD src0_sel:WORD_1 src1_sel:DWORD
	v_fma_f16 v9, v20, v7, -v9
	v_mul_f16_sdwa v10, v21, v6 dst_sel:DWORD dst_unused:UNUSED_PAD src0_sel:WORD_1 src1_sel:DWORD
	v_mul_f16_sdwa v7, v20, v7 dst_sel:DWORD dst_unused:UNUSED_PAD src0_sel:WORD_1 src1_sel:DWORD
	v_fma_f16 v10, v21, v8, -v10
	v_fma_f16 v4, v20, v4, v7
	v_mul_f16_sdwa v7, v21, v8 dst_sel:DWORD dst_unused:UNUSED_PAD src0_sel:WORD_1 src1_sel:DWORD
	v_add_f16_e32 v11, v9, v10
	v_fma_f16 v6, v21, v6, v7
	v_fma_f16 v11, v11, -0.5, v5
	v_sub_f16_e32 v7, v4, v6
	v_fma_f16 v8, v7, s10, v11
	v_fma_f16 v7, v7, s11, v11
	v_add_f16_e32 v11, v4, v6
	v_add_f16_e32 v5, v5, v9
	v_fma_f16 v11, v11, -0.5, v1
	v_add_f16_e32 v1, v1, v4
	v_add_f16_e32 v5, v5, v10
	v_sub_f16_e32 v9, v9, v10
	v_add_f16_e32 v1, v1, v6
	v_fma_f16 v10, v9, s11, v11
	v_fma_f16 v9, v9, s10, v11
	v_pack_b32_f16 v1, v1, v5
	ds_write_b32 v3, v1 offset:972
	v_pack_b32_f16 v1, v9, v7
	ds_write_b32 v3, v1 offset:2592
	;; [unrolled: 2-line block ×3, first 2 shown]
.LBB0_41:
	s_or_b64 exec, exec, s[8:9]
	s_waitcnt lgkmcnt(0)
	s_barrier
	ds_read2_b32 v[6:7], v3 offset1:243
	v_mad_u64_u32 v[8:9], s[0:1], s6, v2, 0
	v_mov_b32_e32 v10, v9
	v_mov_b32_e32 v4, s2
	s_waitcnt lgkmcnt(0)
	v_lshrrev_b32_e32 v1, 16, v6
	v_mul_f16_sdwa v9, v28, v1 dst_sel:DWORD dst_unused:UNUSED_PAD src0_sel:WORD_1 src1_sel:DWORD
	v_fma_f16 v9, v28, v6, v9
	v_cvt_f32_f16_e32 v12, v9
	v_mov_b32_e32 v5, s3
	v_mad_u64_u32 v[10:11], s[0:1], s7, v2, v[10:11]
	s_mov_b32 s2, 0x40e53dbc
	v_mov_b32_e32 v9, v10
	v_cvt_f64_f32_e32 v[10:11], v12
	s_mov_b32 s3, 0x3f4af834
	v_mul_f64 v[10:11], v[10:11], s[2:3]
	s_movk_i32 s6, 0x1ff
	v_and_or_b32 v2, v11, s6, v10
	v_cmp_ne_u32_e32 vcc, 0, v2
	v_lshrrev_b32_e32 v10, 8, v11
	s_movk_i32 s7, 0xffe
	v_cndmask_b32_e64 v2, 0, 1, vcc
	v_bfe_u32 v12, v11, 20, 11
	v_and_or_b32 v2, v10, s7, v2
	v_sub_u32_e32 v13, 0x3f1, v12
	v_or_b32_e32 v10, 0x1000, v2
	v_med3_i32 v13, v13, 0, 13
	v_lshrrev_b32_e32 v14, v13, v10
	v_lshlrev_b32_e32 v13, v13, v14
	v_cmp_ne_u32_e32 vcc, v13, v10
	v_add_u32_e32 v12, 0xfffffc10, v12
	v_lshl_or_b32 v13, v12, 12, v2
	v_cndmask_b32_e64 v10, 0, 1, vcc
	v_or_b32_e32 v10, v14, v10
	v_cmp_gt_i32_e32 vcc, 1, v12
	v_mul_f16_sdwa v6, v28, v6 dst_sel:DWORD dst_unused:UNUSED_PAD src0_sel:WORD_1 src1_sel:DWORD
	v_fma_f16 v1, v28, v1, -v6
	v_cndmask_b32_e32 v10, v13, v10, vcc
	v_and_b32_e32 v13, 7, v10
	v_cmp_lt_i32_e32 vcc, 5, v13
	v_cmp_eq_u32_e64 s[0:1], 3, v13
	v_lshrrev_b32_e32 v10, 2, v10
	s_or_b64 vcc, s[0:1], vcc
	v_addc_co_u32_e32 v10, vcc, 0, v10, vcc
	v_mov_b32_e32 v13, 0x7c00
	v_cmp_gt_i32_e32 vcc, 31, v12
	v_cvt_f32_f16_e32 v1, v1
	s_movk_i32 s8, 0x40f
	v_cndmask_b32_e32 v10, v13, v10, vcc
	v_cmp_ne_u32_e32 vcc, 0, v2
	s_mov_b32 s9, 0x8000
	s_mov_b32 s10, 0xffff
	v_cndmask_b32_e64 v2, 0, 1, vcc
	v_lshl_or_b32 v2, v2, 9, v13
	v_cmp_eq_u32_e32 vcc, s8, v12
	v_and_b32_sdwa v12, v11, s9 dst_sel:DWORD dst_unused:UNUSED_PAD src0_sel:WORD_1 src1_sel:DWORD
	s_nop 0
	v_cndmask_b32_e32 v6, v10, v2, vcc
	v_cvt_f64_f32_e32 v[10:11], v1
	v_mul_f64 v[10:11], v[10:11], s[2:3]
	v_and_or_b32 v1, v11, s6, v10
	v_cmp_ne_u32_e32 vcc, 0, v1
	v_lshrrev_b32_e32 v2, 8, v11
	v_bfe_u32 v10, v11, 20, 11
	v_cndmask_b32_e64 v1, 0, 1, vcc
	v_and_or_b32 v1, v2, s7, v1
	v_sub_u32_e32 v14, 0x3f1, v10
	v_or_b32_e32 v2, 0x1000, v1
	v_med3_i32 v14, v14, 0, 13
	v_lshrrev_b32_e32 v15, v14, v2
	v_lshlrev_b32_e32 v14, v14, v15
	v_cmp_ne_u32_e32 vcc, v14, v2
	v_add_u32_e32 v10, 0xfffffc10, v10
	v_lshl_or_b32 v14, v10, 12, v1
	v_cndmask_b32_e64 v2, 0, 1, vcc
	v_or_b32_e32 v2, v15, v2
	v_cmp_gt_i32_e32 vcc, 1, v10
	s_nop 1
	v_cndmask_b32_e32 v2, v14, v2, vcc
	v_and_b32_e32 v14, 7, v2
	v_cmp_lt_i32_e32 vcc, 5, v14
	v_cmp_eq_u32_e64 s[0:1], 3, v14
	v_lshrrev_b32_e32 v2, 2, v2
	s_or_b64 vcc, s[0:1], vcc
	v_addc_co_u32_e32 v2, vcc, 0, v2, vcc
	v_cmp_gt_i32_e32 vcc, 31, v10
	s_nop 1
	v_cndmask_b32_e32 v2, v13, v2, vcc
	v_cmp_ne_u32_e32 vcc, 0, v1
	s_nop 1
	v_cndmask_b32_e64 v1, 0, 1, vcc
	v_lshl_or_b32 v1, v1, 9, v13
	v_cmp_eq_u32_e32 vcc, s8, v10
	s_nop 1
	v_cndmask_b32_e32 v1, v2, v1, vcc
	v_lshrrev_b32_e32 v2, 16, v11
	v_mad_u64_u32 v[10:11], s[0:1], s4, v0, 0
	v_and_or_b32 v14, v2, s9, v1
	v_mov_b32_e32 v2, v11
	v_mad_u64_u32 v[0:1], s[0:1], s5, v0, v[2:3]
	v_mov_b32_e32 v11, v0
	v_bitop3_b32 v0, v12, s10, v6 bitop3:0xc8
	v_lshrrev_b32_e32 v6, 16, v7
	v_lshl_or_b32 v2, v14, 16, v0
	v_mul_f16_sdwa v0, v27, v6 dst_sel:DWORD dst_unused:UNUSED_PAD src0_sel:WORD_1 src1_sel:DWORD
	v_fma_f16 v0, v27, v7, v0
	v_cvt_f32_f16_e32 v12, v0
	v_lshl_add_u64 v[0:1], v[8:9], 2, v[4:5]
	v_lshl_add_u64 v[0:1], v[10:11], 2, v[0:1]
	global_store_dword v[0:1], v2, off
	v_cvt_f64_f32_e32 v[4:5], v12
	v_mul_f64 v[4:5], v[4:5], s[2:3]
	v_and_or_b32 v2, v5, s6, v4
	v_cmp_ne_u32_e32 vcc, 0, v2
	v_lshrrev_b32_e32 v4, 8, v5
	v_bfe_u32 v8, v5, 20, 11
	v_cndmask_b32_e64 v2, 0, 1, vcc
	v_and_or_b32 v2, v4, s7, v2
	v_sub_u32_e32 v9, 0x3f1, v8
	v_or_b32_e32 v4, 0x1000, v2
	v_med3_i32 v9, v9, 0, 13
	v_lshrrev_b32_e32 v10, v9, v4
	v_lshlrev_b32_e32 v9, v9, v10
	v_cmp_ne_u32_e32 vcc, v9, v4
	v_add_u32_e32 v8, 0xfffffc10, v8
	v_lshl_or_b32 v9, v8, 12, v2
	v_cndmask_b32_e64 v4, 0, 1, vcc
	v_or_b32_e32 v4, v10, v4
	v_cmp_gt_i32_e32 vcc, 1, v8
	v_mul_f16_sdwa v7, v27, v7 dst_sel:DWORD dst_unused:UNUSED_PAD src0_sel:WORD_1 src1_sel:DWORD
	v_fma_f16 v6, v27, v6, -v7
	v_cndmask_b32_e32 v4, v9, v4, vcc
	v_and_b32_e32 v9, 7, v4
	v_cmp_lt_i32_e32 vcc, 5, v9
	v_cmp_eq_u32_e64 s[0:1], 3, v9
	v_lshrrev_b32_e32 v4, 2, v4
	s_or_b64 vcc, s[0:1], vcc
	v_addc_co_u32_e32 v4, vcc, 0, v4, vcc
	v_cmp_gt_i32_e32 vcc, 31, v8
	v_cvt_f32_f16_e32 v6, v6
	v_and_b32_sdwa v7, v5, s9 dst_sel:DWORD dst_unused:UNUSED_PAD src0_sel:WORD_1 src1_sel:DWORD
	v_cndmask_b32_e32 v4, v13, v4, vcc
	v_cmp_ne_u32_e32 vcc, 0, v2
	s_mulk_i32 s5, 0x3cc
	s_nop 0
	v_cndmask_b32_e64 v2, 0, 1, vcc
	v_lshl_or_b32 v2, v2, 9, v13
	v_cmp_eq_u32_e32 vcc, s8, v8
	s_nop 1
	v_cndmask_b32_e32 v2, v4, v2, vcc
	v_cvt_f64_f32_e32 v[4:5], v6
	v_mul_f64 v[4:5], v[4:5], s[2:3]
	v_and_or_b32 v4, v5, s6, v4
	v_cmp_ne_u32_e32 vcc, 0, v4
	v_lshrrev_b32_e32 v6, 8, v5
	v_bfe_u32 v8, v5, 20, 11
	v_cndmask_b32_e64 v4, 0, 1, vcc
	v_and_or_b32 v4, v6, s7, v4
	v_sub_u32_e32 v9, 0x3f1, v8
	v_or_b32_e32 v6, 0x1000, v4
	v_med3_i32 v9, v9, 0, 13
	v_lshrrev_b32_e32 v10, v9, v6
	v_lshlrev_b32_e32 v9, v9, v10
	v_cmp_ne_u32_e32 vcc, v9, v6
	v_add_u32_e32 v8, 0xfffffc10, v8
	v_lshl_or_b32 v9, v8, 12, v4
	v_cndmask_b32_e64 v6, 0, 1, vcc
	v_or_b32_e32 v6, v10, v6
	v_cmp_gt_i32_e32 vcc, 1, v8
	v_lshrrev_b32_e32 v5, 16, v5
	v_bitop3_b32 v2, v7, s10, v2 bitop3:0xc8
	v_cndmask_b32_e32 v6, v9, v6, vcc
	v_and_b32_e32 v9, 7, v6
	v_cmp_lt_i32_e32 vcc, 5, v9
	v_cmp_eq_u32_e64 s[0:1], 3, v9
	v_lshrrev_b32_e32 v6, 2, v6
	s_or_b64 vcc, s[0:1], vcc
	v_addc_co_u32_e32 v6, vcc, 0, v6, vcc
	v_cmp_gt_i32_e32 vcc, 31, v8
	s_nop 1
	v_cndmask_b32_e32 v6, v13, v6, vcc
	v_cmp_ne_u32_e32 vcc, 0, v4
	s_nop 1
	v_cndmask_b32_e64 v4, 0, 1, vcc
	v_lshl_or_b32 v4, v4, 9, v13
	v_cmp_eq_u32_e32 vcc, s8, v8
	v_mov_b32_e32 v8, 0x3cc
	v_mad_u64_u32 v[0:1], s[0:1], s4, v8, v[0:1]
	v_cndmask_b32_e32 v4, v6, v4, vcc
	v_and_or_b32 v6, v5, s9, v4
	v_add_u32_e32 v4, 0x780, v3
	ds_read2_b32 v[4:5], v4 offset0:6 offset1:249
	v_lshl_or_b32 v2, v6, 16, v2
	v_add_u32_e32 v1, s5, v1
	global_store_dword v[0:1], v2, off
	s_waitcnt lgkmcnt(0)
	v_lshrrev_b32_e32 v9, 16, v4
	v_mul_f16_sdwa v6, v26, v9 dst_sel:DWORD dst_unused:UNUSED_PAD src0_sel:WORD_1 src1_sel:DWORD
	v_fma_f16 v6, v26, v4, v6
	v_cvt_f32_f16_e32 v6, v6
	v_mul_f16_sdwa v4, v26, v4 dst_sel:DWORD dst_unused:UNUSED_PAD src0_sel:WORD_1 src1_sel:DWORD
	v_fma_f16 v4, v26, v9, -v4
	v_cvt_f32_f16_e32 v4, v4
	v_cvt_f64_f32_e32 v[6:7], v6
	v_mul_f64 v[6:7], v[6:7], s[2:3]
	v_and_or_b32 v2, v7, s6, v6
	v_cmp_ne_u32_e32 vcc, 0, v2
	v_lshrrev_b32_e32 v6, 8, v7
	v_bfe_u32 v10, v7, 20, 11
	v_cndmask_b32_e64 v2, 0, 1, vcc
	v_and_or_b32 v2, v6, s7, v2
	v_sub_u32_e32 v11, 0x3f1, v10
	v_or_b32_e32 v6, 0x1000, v2
	v_med3_i32 v11, v11, 0, 13
	v_lshrrev_b32_e32 v12, v11, v6
	v_lshlrev_b32_e32 v11, v11, v12
	v_cmp_ne_u32_e32 vcc, v11, v6
	v_add_u32_e32 v10, 0xfffffc10, v10
	v_lshl_or_b32 v11, v10, 12, v2
	v_cndmask_b32_e64 v6, 0, 1, vcc
	v_or_b32_e32 v6, v12, v6
	v_cmp_gt_i32_e32 vcc, 1, v10
	v_and_b32_sdwa v9, v7, s9 dst_sel:DWORD dst_unused:UNUSED_PAD src0_sel:WORD_1 src1_sel:DWORD
	s_nop 0
	v_cndmask_b32_e32 v6, v11, v6, vcc
	v_and_b32_e32 v11, 7, v6
	v_cmp_lt_i32_e32 vcc, 5, v11
	v_cmp_eq_u32_e64 s[0:1], 3, v11
	v_lshrrev_b32_e32 v6, 2, v6
	s_or_b64 vcc, s[0:1], vcc
	v_addc_co_u32_e32 v6, vcc, 0, v6, vcc
	v_cmp_gt_i32_e32 vcc, 31, v10
	s_nop 1
	v_cndmask_b32_e32 v6, v13, v6, vcc
	v_cmp_ne_u32_e32 vcc, 0, v2
	s_nop 1
	v_cndmask_b32_e64 v2, 0, 1, vcc
	v_lshl_or_b32 v2, v2, 9, v13
	v_cmp_eq_u32_e32 vcc, s8, v10
	s_nop 1
	v_cndmask_b32_e32 v2, v6, v2, vcc
	v_cvt_f64_f32_e32 v[6:7], v4
	v_mul_f64 v[6:7], v[6:7], s[2:3]
	v_and_or_b32 v4, v7, s6, v6
	v_cmp_ne_u32_e32 vcc, 0, v4
	v_lshrrev_b32_e32 v6, 8, v7
	v_bfe_u32 v10, v7, 20, 11
	v_cndmask_b32_e64 v4, 0, 1, vcc
	v_and_or_b32 v4, v6, s7, v4
	v_sub_u32_e32 v11, 0x3f1, v10
	v_or_b32_e32 v6, 0x1000, v4
	v_med3_i32 v11, v11, 0, 13
	v_lshrrev_b32_e32 v12, v11, v6
	v_lshlrev_b32_e32 v11, v11, v12
	v_cmp_ne_u32_e32 vcc, v11, v6
	v_add_u32_e32 v10, 0xfffffc10, v10
	v_lshl_or_b32 v11, v10, 12, v4
	v_cndmask_b32_e64 v6, 0, 1, vcc
	v_or_b32_e32 v6, v12, v6
	v_cmp_gt_i32_e32 vcc, 1, v10
	v_bitop3_b32 v2, v9, s10, v2 bitop3:0xc8
	s_nop 0
	v_cndmask_b32_e32 v6, v11, v6, vcc
	v_and_b32_e32 v11, 7, v6
	v_cmp_lt_i32_e32 vcc, 5, v11
	v_cmp_eq_u32_e64 s[0:1], 3, v11
	v_lshrrev_b32_e32 v6, 2, v6
	s_or_b64 vcc, s[0:1], vcc
	v_addc_co_u32_e32 v6, vcc, 0, v6, vcc
	v_cmp_gt_i32_e32 vcc, 31, v10
	v_mad_u64_u32 v[0:1], s[0:1], s4, v8, v[0:1]
	s_nop 0
	v_cndmask_b32_e32 v6, v13, v6, vcc
	v_cmp_ne_u32_e32 vcc, 0, v4
	v_add_u32_e32 v1, s5, v1
	s_nop 0
	v_cndmask_b32_e64 v4, 0, 1, vcc
	v_lshl_or_b32 v4, v4, 9, v13
	v_cmp_eq_u32_e32 vcc, s8, v10
	s_nop 1
	v_cndmask_b32_e32 v4, v6, v4, vcc
	v_lshrrev_b32_e32 v6, 16, v7
	v_and_or_b32 v4, v6, s9, v4
	v_lshl_or_b32 v2, v4, 16, v2
	v_lshrrev_b32_e32 v4, 16, v5
	v_mul_f16_sdwa v6, v25, v4 dst_sel:DWORD dst_unused:UNUSED_PAD src0_sel:WORD_1 src1_sel:DWORD
	v_fma_f16 v6, v25, v5, v6
	v_cvt_f32_f16_e32 v6, v6
	global_store_dword v[0:1], v2, off
	v_mul_f16_sdwa v5, v25, v5 dst_sel:DWORD dst_unused:UNUSED_PAD src0_sel:WORD_1 src1_sel:DWORD
	v_fma_f16 v4, v25, v4, -v5
	v_cvt_f64_f32_e32 v[6:7], v6
	v_mul_f64 v[6:7], v[6:7], s[2:3]
	v_and_or_b32 v2, v7, s6, v6
	v_cmp_ne_u32_e32 vcc, 0, v2
	v_lshrrev_b32_e32 v6, 8, v7
	v_bfe_u32 v9, v7, 20, 11
	v_cndmask_b32_e64 v2, 0, 1, vcc
	v_and_or_b32 v2, v6, s7, v2
	v_sub_u32_e32 v10, 0x3f1, v9
	v_or_b32_e32 v6, 0x1000, v2
	v_med3_i32 v10, v10, 0, 13
	v_lshrrev_b32_e32 v11, v10, v6
	v_lshlrev_b32_e32 v10, v10, v11
	v_cmp_ne_u32_e32 vcc, v10, v6
	v_add_u32_e32 v9, 0xfffffc10, v9
	v_lshl_or_b32 v10, v9, 12, v2
	v_cndmask_b32_e64 v6, 0, 1, vcc
	v_or_b32_e32 v6, v11, v6
	v_cmp_gt_i32_e32 vcc, 1, v9
	v_cvt_f32_f16_e32 v4, v4
	v_cvt_f64_f32_e32 v[4:5], v4
	v_cndmask_b32_e32 v6, v10, v6, vcc
	v_and_b32_e32 v10, 7, v6
	v_cmp_lt_i32_e32 vcc, 5, v10
	v_cmp_eq_u32_e64 s[0:1], 3, v10
	v_lshrrev_b32_e32 v6, 2, v6
	s_or_b64 vcc, s[0:1], vcc
	v_addc_co_u32_e32 v6, vcc, 0, v6, vcc
	v_cmp_gt_i32_e32 vcc, 31, v9
	v_mul_f64 v[4:5], v[4:5], s[2:3]
	v_and_or_b32 v4, v5, s6, v4
	v_cndmask_b32_e32 v6, v13, v6, vcc
	v_cmp_ne_u32_e32 vcc, 0, v2
	s_nop 1
	v_cndmask_b32_e64 v2, 0, 1, vcc
	v_lshl_or_b32 v2, v2, 9, v13
	v_cmp_eq_u32_e32 vcc, s8, v9
	v_bfe_u32 v9, v5, 20, 11
	v_sub_u32_e32 v10, 0x3f1, v9
	v_cndmask_b32_e32 v2, v6, v2, vcc
	v_cmp_ne_u32_e32 vcc, 0, v4
	v_and_b32_sdwa v6, v7, s9 dst_sel:DWORD dst_unused:UNUSED_PAD src0_sel:WORD_1 src1_sel:DWORD
	v_lshrrev_b32_e32 v7, 8, v5
	v_cndmask_b32_e64 v4, 0, 1, vcc
	v_and_or_b32 v4, v7, s7, v4
	v_or_b32_e32 v7, 0x1000, v4
	v_med3_i32 v10, v10, 0, 13
	v_lshrrev_b32_e32 v11, v10, v7
	v_lshlrev_b32_e32 v10, v10, v11
	v_cmp_ne_u32_e32 vcc, v10, v7
	v_add_u32_e32 v9, 0xfffffc10, v9
	v_lshl_or_b32 v10, v9, 12, v4
	v_cndmask_b32_e64 v7, 0, 1, vcc
	v_or_b32_e32 v7, v11, v7
	v_cmp_gt_i32_e32 vcc, 1, v9
	v_bitop3_b32 v2, v6, s10, v2 bitop3:0xc8
	s_nop 0
	v_cndmask_b32_e32 v7, v10, v7, vcc
	v_and_b32_e32 v10, 7, v7
	v_cmp_lt_i32_e32 vcc, 5, v10
	v_cmp_eq_u32_e64 s[0:1], 3, v10
	v_lshrrev_b32_e32 v7, 2, v7
	s_or_b64 vcc, s[0:1], vcc
	v_addc_co_u32_e32 v7, vcc, 0, v7, vcc
	v_cmp_gt_i32_e32 vcc, 31, v9
	v_mad_u64_u32 v[0:1], s[0:1], s4, v8, v[0:1]
	s_nop 0
	v_cndmask_b32_e32 v7, v13, v7, vcc
	v_cmp_ne_u32_e32 vcc, 0, v4
	v_add_u32_e32 v1, s5, v1
	s_nop 0
	v_cndmask_b32_e64 v4, 0, 1, vcc
	v_lshl_or_b32 v4, v4, 9, v13
	v_cmp_eq_u32_e32 vcc, s8, v9
	s_nop 1
	v_cndmask_b32_e32 v4, v7, v4, vcc
	ds_read_b32 v7, v3 offset:3888
	v_lshrrev_b32_e32 v3, 16, v5
	v_and_or_b32 v3, v3, s9, v4
	v_lshl_or_b32 v2, v3, 16, v2
	global_store_dword v[0:1], v2, off
	s_waitcnt lgkmcnt(0)
	v_lshrrev_b32_e32 v4, 16, v7
	v_mul_f16_sdwa v3, v24, v4 dst_sel:DWORD dst_unused:UNUSED_PAD src0_sel:WORD_1 src1_sel:DWORD
	v_fma_f16 v3, v24, v7, v3
	v_cvt_f32_f16_e32 v3, v3
	v_mul_f16_sdwa v7, v24, v7 dst_sel:DWORD dst_unused:UNUSED_PAD src0_sel:WORD_1 src1_sel:DWORD
	v_fma_f16 v4, v24, v4, -v7
	v_cvt_f32_f16_e32 v4, v4
	v_cvt_f64_f32_e32 v[2:3], v3
	v_mul_f64 v[2:3], v[2:3], s[2:3]
	v_and_or_b32 v2, v3, s6, v2
	v_cmp_ne_u32_e32 vcc, 0, v2
	v_lshrrev_b32_e32 v5, 8, v3
	v_bfe_u32 v6, v3, 20, 11
	v_cndmask_b32_e64 v2, 0, 1, vcc
	v_and_or_b32 v2, v5, s7, v2
	v_sub_u32_e32 v9, 0x3f1, v6
	v_or_b32_e32 v5, 0x1000, v2
	v_med3_i32 v9, v9, 0, 13
	v_lshrrev_b32_e32 v10, v9, v5
	v_lshlrev_b32_e32 v9, v9, v10
	v_cmp_ne_u32_e32 vcc, v9, v5
	v_add_u32_e32 v6, 0xfffffc10, v6
	v_lshl_or_b32 v9, v6, 12, v2
	v_cndmask_b32_e64 v5, 0, 1, vcc
	v_or_b32_e32 v5, v10, v5
	v_cmp_gt_i32_e32 vcc, 1, v6
	s_nop 1
	v_cndmask_b32_e32 v5, v9, v5, vcc
	v_and_b32_e32 v9, 7, v5
	v_cmp_lt_i32_e32 vcc, 5, v9
	v_cmp_eq_u32_e64 s[0:1], 3, v9
	v_lshrrev_b32_e32 v5, 2, v5
	s_or_b64 vcc, s[0:1], vcc
	v_addc_co_u32_e32 v5, vcc, 0, v5, vcc
	v_cmp_gt_i32_e32 vcc, 31, v6
	s_nop 1
	v_cndmask_b32_e32 v5, v13, v5, vcc
	v_cmp_ne_u32_e32 vcc, 0, v2
	s_nop 1
	v_cndmask_b32_e64 v2, 0, 1, vcc
	v_lshl_or_b32 v2, v2, 9, v13
	v_cmp_eq_u32_e32 vcc, s8, v6
	v_and_b32_sdwa v6, v3, s9 dst_sel:DWORD dst_unused:UNUSED_PAD src0_sel:WORD_1 src1_sel:DWORD
	s_nop 0
	v_cndmask_b32_e32 v5, v5, v2, vcc
	v_cvt_f64_f32_e32 v[2:3], v4
	v_mul_f64 v[2:3], v[2:3], s[2:3]
	v_and_or_b32 v2, v3, s6, v2
	v_cmp_ne_u32_e32 vcc, 0, v2
	v_lshrrev_b32_e32 v4, 8, v3
	v_bfe_u32 v7, v3, 20, 11
	v_cndmask_b32_e64 v2, 0, 1, vcc
	v_and_or_b32 v2, v4, s7, v2
	v_sub_u32_e32 v9, 0x3f1, v7
	v_or_b32_e32 v4, 0x1000, v2
	v_med3_i32 v9, v9, 0, 13
	v_lshrrev_b32_e32 v10, v9, v4
	v_lshlrev_b32_e32 v9, v9, v10
	v_cmp_ne_u32_e32 vcc, v9, v4
	v_add_u32_e32 v7, 0xfffffc10, v7
	v_lshl_or_b32 v9, v7, 12, v2
	v_cndmask_b32_e64 v4, 0, 1, vcc
	v_or_b32_e32 v4, v10, v4
	v_cmp_gt_i32_e32 vcc, 1, v7
	v_lshrrev_b32_e32 v3, 16, v3
	s_nop 0
	v_cndmask_b32_e32 v4, v9, v4, vcc
	v_and_b32_e32 v9, 7, v4
	v_cmp_lt_i32_e32 vcc, 5, v9
	v_cmp_eq_u32_e64 s[0:1], 3, v9
	v_lshrrev_b32_e32 v4, 2, v4
	s_or_b64 vcc, s[0:1], vcc
	v_addc_co_u32_e32 v4, vcc, 0, v4, vcc
	v_cmp_gt_i32_e32 vcc, 31, v7
	v_mad_u64_u32 v[0:1], s[0:1], s4, v8, v[0:1]
	s_nop 0
	v_cndmask_b32_e32 v4, v13, v4, vcc
	v_cmp_ne_u32_e32 vcc, 0, v2
	v_add_u32_e32 v1, s5, v1
	s_nop 0
	v_cndmask_b32_e64 v2, 0, 1, vcc
	v_lshl_or_b32 v2, v2, 9, v13
	v_cmp_eq_u32_e32 vcc, s8, v7
	s_nop 1
	v_cndmask_b32_e32 v2, v4, v2, vcc
	v_and_or_b32 v2, v3, s9, v2
	v_bitop3_b32 v3, v6, s10, v5 bitop3:0xc8
	v_lshl_or_b32 v2, v2, 16, v3
	global_store_dword v[0:1], v2, off
.LBB0_42:
	s_endpgm
	.section	.rodata,"a",@progbits
	.p2align	6, 0x0
	.amdhsa_kernel bluestein_single_fwd_len1215_dim1_half_op_CI_CI
		.amdhsa_group_segment_fixed_size 4860
		.amdhsa_private_segment_fixed_size 0
		.amdhsa_kernarg_size 104
		.amdhsa_user_sgpr_count 2
		.amdhsa_user_sgpr_dispatch_ptr 0
		.amdhsa_user_sgpr_queue_ptr 0
		.amdhsa_user_sgpr_kernarg_segment_ptr 1
		.amdhsa_user_sgpr_dispatch_id 0
		.amdhsa_user_sgpr_kernarg_preload_length 0
		.amdhsa_user_sgpr_kernarg_preload_offset 0
		.amdhsa_user_sgpr_private_segment_size 0
		.amdhsa_uses_dynamic_stack 0
		.amdhsa_enable_private_segment 0
		.amdhsa_system_sgpr_workgroup_id_x 1
		.amdhsa_system_sgpr_workgroup_id_y 0
		.amdhsa_system_sgpr_workgroup_id_z 0
		.amdhsa_system_sgpr_workgroup_info 0
		.amdhsa_system_vgpr_workitem_id 0
		.amdhsa_next_free_vgpr 60
		.amdhsa_next_free_sgpr 16
		.amdhsa_accum_offset 60
		.amdhsa_reserve_vcc 1
		.amdhsa_float_round_mode_32 0
		.amdhsa_float_round_mode_16_64 0
		.amdhsa_float_denorm_mode_32 3
		.amdhsa_float_denorm_mode_16_64 3
		.amdhsa_dx10_clamp 1
		.amdhsa_ieee_mode 1
		.amdhsa_fp16_overflow 0
		.amdhsa_tg_split 0
		.amdhsa_exception_fp_ieee_invalid_op 0
		.amdhsa_exception_fp_denorm_src 0
		.amdhsa_exception_fp_ieee_div_zero 0
		.amdhsa_exception_fp_ieee_overflow 0
		.amdhsa_exception_fp_ieee_underflow 0
		.amdhsa_exception_fp_ieee_inexact 0
		.amdhsa_exception_int_div_zero 0
	.end_amdhsa_kernel
	.text
.Lfunc_end0:
	.size	bluestein_single_fwd_len1215_dim1_half_op_CI_CI, .Lfunc_end0-bluestein_single_fwd_len1215_dim1_half_op_CI_CI
                                        ; -- End function
	.section	.AMDGPU.csdata,"",@progbits
; Kernel info:
; codeLenInByte = 10364
; NumSgprs: 22
; NumVgprs: 60
; NumAgprs: 0
; TotalNumVgprs: 60
; ScratchSize: 0
; MemoryBound: 0
; FloatMode: 240
; IeeeMode: 1
; LDSByteSize: 4860 bytes/workgroup (compile time only)
; SGPRBlocks: 2
; VGPRBlocks: 7
; NumSGPRsForWavesPerEU: 22
; NumVGPRsForWavesPerEU: 60
; AccumOffset: 60
; Occupancy: 8
; WaveLimiterHint : 1
; COMPUTE_PGM_RSRC2:SCRATCH_EN: 0
; COMPUTE_PGM_RSRC2:USER_SGPR: 2
; COMPUTE_PGM_RSRC2:TRAP_HANDLER: 0
; COMPUTE_PGM_RSRC2:TGID_X_EN: 1
; COMPUTE_PGM_RSRC2:TGID_Y_EN: 0
; COMPUTE_PGM_RSRC2:TGID_Z_EN: 0
; COMPUTE_PGM_RSRC2:TIDIG_COMP_CNT: 0
; COMPUTE_PGM_RSRC3_GFX90A:ACCUM_OFFSET: 14
; COMPUTE_PGM_RSRC3_GFX90A:TG_SPLIT: 0
	.text
	.p2alignl 6, 3212836864
	.fill 256, 4, 3212836864
	.type	__hip_cuid_82f18d2f61646da,@object ; @__hip_cuid_82f18d2f61646da
	.section	.bss,"aw",@nobits
	.globl	__hip_cuid_82f18d2f61646da
__hip_cuid_82f18d2f61646da:
	.byte	0                               ; 0x0
	.size	__hip_cuid_82f18d2f61646da, 1

	.ident	"AMD clang version 19.0.0git (https://github.com/RadeonOpenCompute/llvm-project roc-6.4.0 25133 c7fe45cf4b819c5991fe208aaa96edf142730f1d)"
	.section	".note.GNU-stack","",@progbits
	.addrsig
	.addrsig_sym __hip_cuid_82f18d2f61646da
	.amdgpu_metadata
---
amdhsa.kernels:
  - .agpr_count:     0
    .args:
      - .actual_access:  read_only
        .address_space:  global
        .offset:         0
        .size:           8
        .value_kind:     global_buffer
      - .actual_access:  read_only
        .address_space:  global
        .offset:         8
        .size:           8
        .value_kind:     global_buffer
      - .actual_access:  read_only
        .address_space:  global
        .offset:         16
        .size:           8
        .value_kind:     global_buffer
      - .actual_access:  read_only
        .address_space:  global
        .offset:         24
        .size:           8
        .value_kind:     global_buffer
      - .actual_access:  read_only
        .address_space:  global
        .offset:         32
        .size:           8
        .value_kind:     global_buffer
      - .offset:         40
        .size:           8
        .value_kind:     by_value
      - .address_space:  global
        .offset:         48
        .size:           8
        .value_kind:     global_buffer
      - .address_space:  global
        .offset:         56
        .size:           8
        .value_kind:     global_buffer
      - .address_space:  global
        .offset:         64
        .size:           8
        .value_kind:     global_buffer
      - .address_space:  global
        .offset:         72
        .size:           8
        .value_kind:     global_buffer
      - .offset:         80
        .size:           4
        .value_kind:     by_value
      - .address_space:  global
        .offset:         88
        .size:           8
        .value_kind:     global_buffer
      - .address_space:  global
        .offset:         96
        .size:           8
        .value_kind:     global_buffer
    .group_segment_fixed_size: 4860
    .kernarg_segment_align: 8
    .kernarg_segment_size: 104
    .language:       OpenCL C
    .language_version:
      - 2
      - 0
    .max_flat_workgroup_size: 243
    .name:           bluestein_single_fwd_len1215_dim1_half_op_CI_CI
    .private_segment_fixed_size: 0
    .sgpr_count:     22
    .sgpr_spill_count: 0
    .symbol:         bluestein_single_fwd_len1215_dim1_half_op_CI_CI.kd
    .uniform_work_group_size: 1
    .uses_dynamic_stack: false
    .vgpr_count:     60
    .vgpr_spill_count: 0
    .wavefront_size: 64
amdhsa.target:   amdgcn-amd-amdhsa--gfx950
amdhsa.version:
  - 1
  - 2
...

	.end_amdgpu_metadata
